;; amdgpu-corpus repo=ROCm/rocFFT kind=compiled arch=gfx1100 opt=O3
	.text
	.amdgcn_target "amdgcn-amd-amdhsa--gfx1100"
	.amdhsa_code_object_version 6
	.protected	fft_rtc_fwd_len1088_factors_17_4_4_2_2_wgs_204_tpt_68_halfLds_dp_op_CI_CI_unitstride_sbrr_R2C_dirReg ; -- Begin function fft_rtc_fwd_len1088_factors_17_4_4_2_2_wgs_204_tpt_68_halfLds_dp_op_CI_CI_unitstride_sbrr_R2C_dirReg
	.globl	fft_rtc_fwd_len1088_factors_17_4_4_2_2_wgs_204_tpt_68_halfLds_dp_op_CI_CI_unitstride_sbrr_R2C_dirReg
	.p2align	8
	.type	fft_rtc_fwd_len1088_factors_17_4_4_2_2_wgs_204_tpt_68_halfLds_dp_op_CI_CI_unitstride_sbrr_R2C_dirReg,@function
fft_rtc_fwd_len1088_factors_17_4_4_2_2_wgs_204_tpt_68_halfLds_dp_op_CI_CI_unitstride_sbrr_R2C_dirReg: ; @fft_rtc_fwd_len1088_factors_17_4_4_2_2_wgs_204_tpt_68_halfLds_dp_op_CI_CI_unitstride_sbrr_R2C_dirReg
; %bb.0:
	s_load_b128 s[8:11], s[0:1], 0x0
	v_mul_u32_u24_e32 v1, 0x3c4, v0
	s_clause 0x1
	s_load_b128 s[4:7], s[0:1], 0x58
	s_load_b128 s[16:19], s[0:1], 0x18
	v_mov_b32_e32 v5, 0
	v_lshrrev_b32_e32 v6, 16, v1
	v_mov_b32_e32 v1, 0
	v_mov_b32_e32 v2, 0
	s_delay_alu instid0(VALU_DEP_3) | instskip(NEXT) | instid1(VALU_DEP_2)
	v_mad_u64_u32 v[3:4], null, s15, 3, v[6:7]
	v_dual_mov_b32 v4, v5 :: v_dual_mov_b32 v69, v2
	s_delay_alu instid0(VALU_DEP_1) | instskip(NEXT) | instid1(VALU_DEP_3)
	v_dual_mov_b32 v68, v1 :: v_dual_mov_b32 v73, v4
	v_mov_b32_e32 v72, v3
	s_waitcnt lgkmcnt(0)
	v_cmp_lt_u64_e64 s2, s[10:11], 2
	s_delay_alu instid0(VALU_DEP_1)
	s_and_b32 vcc_lo, exec_lo, s2
	s_cbranch_vccnz .LBB0_8
; %bb.1:
	s_load_b64 s[2:3], s[0:1], 0x10
	v_dual_mov_b32 v1, 0 :: v_dual_mov_b32 v8, v4
	v_dual_mov_b32 v2, 0 :: v_dual_mov_b32 v7, v3
	s_add_u32 s12, s18, 8
	s_addc_u32 s13, s19, 0
	s_add_u32 s14, s16, 8
	s_delay_alu instid0(VALU_DEP_1)
	v_dual_mov_b32 v69, v2 :: v_dual_mov_b32 v68, v1
	s_addc_u32 s15, s17, 0
	s_mov_b64 s[22:23], 1
	s_waitcnt lgkmcnt(0)
	s_add_u32 s20, s2, 8
	s_addc_u32 s21, s3, 0
.LBB0_2:                                ; =>This Inner Loop Header: Depth=1
	s_load_b64 s[24:25], s[20:21], 0x0
                                        ; implicit-def: $vgpr72_vgpr73
	s_mov_b32 s2, exec_lo
	s_waitcnt lgkmcnt(0)
	v_or_b32_e32 v6, s25, v8
	s_delay_alu instid0(VALU_DEP_1)
	v_cmpx_ne_u64_e32 0, v[5:6]
	s_xor_b32 s3, exec_lo, s2
	s_cbranch_execz .LBB0_4
; %bb.3:                                ;   in Loop: Header=BB0_2 Depth=1
	v_cvt_f32_u32_e32 v4, s24
	v_cvt_f32_u32_e32 v6, s25
	s_sub_u32 s2, 0, s24
	s_subb_u32 s26, 0, s25
	s_delay_alu instid0(VALU_DEP_1) | instskip(NEXT) | instid1(VALU_DEP_1)
	v_fmac_f32_e32 v4, 0x4f800000, v6
	v_rcp_f32_e32 v4, v4
	s_waitcnt_depctr 0xfff
	v_mul_f32_e32 v4, 0x5f7ffffc, v4
	s_delay_alu instid0(VALU_DEP_1) | instskip(NEXT) | instid1(VALU_DEP_1)
	v_mul_f32_e32 v6, 0x2f800000, v4
	v_trunc_f32_e32 v6, v6
	s_delay_alu instid0(VALU_DEP_1) | instskip(SKIP_1) | instid1(VALU_DEP_2)
	v_fmac_f32_e32 v4, 0xcf800000, v6
	v_cvt_u32_f32_e32 v6, v6
	v_cvt_u32_f32_e32 v4, v4
	s_delay_alu instid0(VALU_DEP_2) | instskip(NEXT) | instid1(VALU_DEP_2)
	v_mul_lo_u32 v9, s2, v6
	v_mul_hi_u32 v10, s2, v4
	v_mul_lo_u32 v11, s26, v4
	s_delay_alu instid0(VALU_DEP_2) | instskip(SKIP_1) | instid1(VALU_DEP_2)
	v_add_nc_u32_e32 v9, v10, v9
	v_mul_lo_u32 v10, s2, v4
	v_add_nc_u32_e32 v9, v9, v11
	s_delay_alu instid0(VALU_DEP_2) | instskip(NEXT) | instid1(VALU_DEP_2)
	v_mul_hi_u32 v11, v4, v10
	v_mul_lo_u32 v12, v4, v9
	v_mul_hi_u32 v13, v4, v9
	v_mul_hi_u32 v14, v6, v10
	v_mul_lo_u32 v10, v6, v10
	v_mul_hi_u32 v15, v6, v9
	v_mul_lo_u32 v9, v6, v9
	v_add_co_u32 v11, vcc_lo, v11, v12
	v_add_co_ci_u32_e32 v12, vcc_lo, 0, v13, vcc_lo
	s_delay_alu instid0(VALU_DEP_2) | instskip(NEXT) | instid1(VALU_DEP_2)
	v_add_co_u32 v10, vcc_lo, v11, v10
	v_add_co_ci_u32_e32 v10, vcc_lo, v12, v14, vcc_lo
	v_add_co_ci_u32_e32 v11, vcc_lo, 0, v15, vcc_lo
	s_delay_alu instid0(VALU_DEP_2) | instskip(NEXT) | instid1(VALU_DEP_2)
	v_add_co_u32 v9, vcc_lo, v10, v9
	v_add_co_ci_u32_e32 v10, vcc_lo, 0, v11, vcc_lo
	s_delay_alu instid0(VALU_DEP_2) | instskip(NEXT) | instid1(VALU_DEP_2)
	v_add_co_u32 v4, vcc_lo, v4, v9
	v_add_co_ci_u32_e32 v6, vcc_lo, v6, v10, vcc_lo
	s_delay_alu instid0(VALU_DEP_2) | instskip(SKIP_1) | instid1(VALU_DEP_3)
	v_mul_hi_u32 v9, s2, v4
	v_mul_lo_u32 v11, s26, v4
	v_mul_lo_u32 v10, s2, v6
	s_delay_alu instid0(VALU_DEP_1) | instskip(SKIP_1) | instid1(VALU_DEP_2)
	v_add_nc_u32_e32 v9, v9, v10
	v_mul_lo_u32 v10, s2, v4
	v_add_nc_u32_e32 v9, v9, v11
	s_delay_alu instid0(VALU_DEP_2) | instskip(NEXT) | instid1(VALU_DEP_2)
	v_mul_hi_u32 v11, v4, v10
	v_mul_lo_u32 v12, v4, v9
	v_mul_hi_u32 v13, v4, v9
	v_mul_hi_u32 v14, v6, v10
	v_mul_lo_u32 v10, v6, v10
	v_mul_hi_u32 v15, v6, v9
	v_mul_lo_u32 v9, v6, v9
	v_add_co_u32 v11, vcc_lo, v11, v12
	v_add_co_ci_u32_e32 v12, vcc_lo, 0, v13, vcc_lo
	s_delay_alu instid0(VALU_DEP_2) | instskip(NEXT) | instid1(VALU_DEP_2)
	v_add_co_u32 v10, vcc_lo, v11, v10
	v_add_co_ci_u32_e32 v10, vcc_lo, v12, v14, vcc_lo
	v_add_co_ci_u32_e32 v11, vcc_lo, 0, v15, vcc_lo
	s_delay_alu instid0(VALU_DEP_2) | instskip(NEXT) | instid1(VALU_DEP_2)
	v_add_co_u32 v9, vcc_lo, v10, v9
	v_add_co_ci_u32_e32 v10, vcc_lo, 0, v11, vcc_lo
	s_delay_alu instid0(VALU_DEP_2) | instskip(NEXT) | instid1(VALU_DEP_2)
	v_add_co_u32 v4, vcc_lo, v4, v9
	v_add_co_ci_u32_e32 v6, vcc_lo, v6, v10, vcc_lo
	s_delay_alu instid0(VALU_DEP_2) | instskip(SKIP_1) | instid1(VALU_DEP_3)
	v_mul_hi_u32 v15, v7, v4
	v_mad_u64_u32 v[11:12], null, v8, v4, 0
	v_mad_u64_u32 v[9:10], null, v7, v6, 0
	;; [unrolled: 1-line block ×3, first 2 shown]
	s_delay_alu instid0(VALU_DEP_2) | instskip(NEXT) | instid1(VALU_DEP_3)
	v_add_co_u32 v4, vcc_lo, v15, v9
	v_add_co_ci_u32_e32 v6, vcc_lo, 0, v10, vcc_lo
	s_delay_alu instid0(VALU_DEP_2) | instskip(NEXT) | instid1(VALU_DEP_2)
	v_add_co_u32 v4, vcc_lo, v4, v11
	v_add_co_ci_u32_e32 v4, vcc_lo, v6, v12, vcc_lo
	v_add_co_ci_u32_e32 v6, vcc_lo, 0, v14, vcc_lo
	s_delay_alu instid0(VALU_DEP_2) | instskip(NEXT) | instid1(VALU_DEP_2)
	v_add_co_u32 v4, vcc_lo, v4, v13
	v_add_co_ci_u32_e32 v6, vcc_lo, 0, v6, vcc_lo
	s_delay_alu instid0(VALU_DEP_2) | instskip(SKIP_1) | instid1(VALU_DEP_3)
	v_mul_lo_u32 v11, s25, v4
	v_mad_u64_u32 v[9:10], null, s24, v4, 0
	v_mul_lo_u32 v12, s24, v6
	s_delay_alu instid0(VALU_DEP_2) | instskip(NEXT) | instid1(VALU_DEP_2)
	v_sub_co_u32 v9, vcc_lo, v7, v9
	v_add3_u32 v10, v10, v12, v11
	s_delay_alu instid0(VALU_DEP_1) | instskip(NEXT) | instid1(VALU_DEP_1)
	v_sub_nc_u32_e32 v11, v8, v10
	v_subrev_co_ci_u32_e64 v11, s2, s25, v11, vcc_lo
	v_add_co_u32 v12, s2, v4, 2
	s_delay_alu instid0(VALU_DEP_1) | instskip(SKIP_3) | instid1(VALU_DEP_3)
	v_add_co_ci_u32_e64 v13, s2, 0, v6, s2
	v_sub_co_u32 v14, s2, v9, s24
	v_sub_co_ci_u32_e32 v10, vcc_lo, v8, v10, vcc_lo
	v_subrev_co_ci_u32_e64 v11, s2, 0, v11, s2
	v_cmp_le_u32_e32 vcc_lo, s24, v14
	s_delay_alu instid0(VALU_DEP_3) | instskip(SKIP_1) | instid1(VALU_DEP_4)
	v_cmp_eq_u32_e64 s2, s25, v10
	v_cndmask_b32_e64 v14, 0, -1, vcc_lo
	v_cmp_le_u32_e32 vcc_lo, s25, v11
	v_cndmask_b32_e64 v15, 0, -1, vcc_lo
	v_cmp_le_u32_e32 vcc_lo, s24, v9
	;; [unrolled: 2-line block ×3, first 2 shown]
	v_cndmask_b32_e64 v16, 0, -1, vcc_lo
	v_cmp_eq_u32_e32 vcc_lo, s25, v11
	s_delay_alu instid0(VALU_DEP_2) | instskip(SKIP_3) | instid1(VALU_DEP_3)
	v_cndmask_b32_e64 v9, v16, v9, s2
	v_cndmask_b32_e32 v11, v15, v14, vcc_lo
	v_add_co_u32 v14, vcc_lo, v4, 1
	v_add_co_ci_u32_e32 v15, vcc_lo, 0, v6, vcc_lo
	v_cmp_ne_u32_e32 vcc_lo, 0, v11
	s_delay_alu instid0(VALU_DEP_2) | instskip(SKIP_1) | instid1(VALU_DEP_2)
	v_dual_cndmask_b32 v10, v15, v13 :: v_dual_cndmask_b32 v11, v14, v12
	v_cmp_ne_u32_e32 vcc_lo, 0, v9
	v_dual_cndmask_b32 v73, v6, v10 :: v_dual_cndmask_b32 v72, v4, v11
.LBB0_4:                                ;   in Loop: Header=BB0_2 Depth=1
	s_and_not1_saveexec_b32 s2, s3
	s_cbranch_execz .LBB0_6
; %bb.5:                                ;   in Loop: Header=BB0_2 Depth=1
	v_cvt_f32_u32_e32 v4, s24
	s_sub_i32 s3, 0, s24
	v_mov_b32_e32 v73, v5
	s_delay_alu instid0(VALU_DEP_2) | instskip(SKIP_2) | instid1(VALU_DEP_1)
	v_rcp_iflag_f32_e32 v4, v4
	s_waitcnt_depctr 0xfff
	v_mul_f32_e32 v4, 0x4f7ffffe, v4
	v_cvt_u32_f32_e32 v4, v4
	s_delay_alu instid0(VALU_DEP_1) | instskip(NEXT) | instid1(VALU_DEP_1)
	v_mul_lo_u32 v6, s3, v4
	v_mul_hi_u32 v6, v4, v6
	s_delay_alu instid0(VALU_DEP_1) | instskip(NEXT) | instid1(VALU_DEP_1)
	v_add_nc_u32_e32 v4, v4, v6
	v_mul_hi_u32 v4, v7, v4
	s_delay_alu instid0(VALU_DEP_1) | instskip(NEXT) | instid1(VALU_DEP_1)
	v_mul_lo_u32 v6, v4, s24
	v_sub_nc_u32_e32 v6, v7, v6
	s_delay_alu instid0(VALU_DEP_1) | instskip(SKIP_1) | instid1(VALU_DEP_2)
	v_subrev_nc_u32_e32 v10, s24, v6
	v_cmp_le_u32_e32 vcc_lo, s24, v6
	v_dual_cndmask_b32 v6, v6, v10 :: v_dual_add_nc_u32 v9, 1, v4
	s_delay_alu instid0(VALU_DEP_1) | instskip(NEXT) | instid1(VALU_DEP_2)
	v_cndmask_b32_e32 v4, v4, v9, vcc_lo
	v_cmp_le_u32_e32 vcc_lo, s24, v6
	s_delay_alu instid0(VALU_DEP_2) | instskip(NEXT) | instid1(VALU_DEP_1)
	v_add_nc_u32_e32 v9, 1, v4
	v_cndmask_b32_e32 v72, v4, v9, vcc_lo
.LBB0_6:                                ;   in Loop: Header=BB0_2 Depth=1
	s_or_b32 exec_lo, exec_lo, s2
	s_delay_alu instid0(VALU_DEP_1) | instskip(NEXT) | instid1(VALU_DEP_2)
	v_mul_lo_u32 v4, v73, s24
	v_mul_lo_u32 v6, v72, s25
	s_load_b64 s[2:3], s[14:15], 0x0
	v_mad_u64_u32 v[9:10], null, v72, s24, 0
	s_load_b64 s[24:25], s[12:13], 0x0
	s_add_u32 s22, s22, 1
	s_addc_u32 s23, s23, 0
	s_add_u32 s12, s12, 8
	s_addc_u32 s13, s13, 0
	s_add_u32 s14, s14, 8
	s_delay_alu instid0(VALU_DEP_1) | instskip(SKIP_3) | instid1(VALU_DEP_2)
	v_add3_u32 v4, v10, v6, v4
	v_sub_co_u32 v10, vcc_lo, v7, v9
	s_addc_u32 s15, s15, 0
	s_add_u32 s20, s20, 8
	v_sub_co_ci_u32_e32 v4, vcc_lo, v8, v4, vcc_lo
	s_addc_u32 s21, s21, 0
	s_waitcnt lgkmcnt(0)
	s_delay_alu instid0(VALU_DEP_1)
	v_mul_lo_u32 v11, s2, v4
	v_mul_lo_u32 v12, s3, v10
	v_mad_u64_u32 v[6:7], null, s2, v10, v[1:2]
	v_mul_lo_u32 v4, s24, v4
	v_mul_lo_u32 v13, s25, v10
	v_mad_u64_u32 v[8:9], null, s24, v10, v[68:69]
	v_cmp_ge_u64_e64 s2, s[22:23], s[10:11]
	v_add3_u32 v2, v12, v7, v11
	s_delay_alu instid0(VALU_DEP_3) | instskip(NEXT) | instid1(VALU_DEP_4)
	v_dual_mov_b32 v1, v6 :: v_dual_mov_b32 v68, v8
	v_add3_u32 v69, v13, v9, v4
	s_delay_alu instid0(VALU_DEP_4)
	s_and_b32 vcc_lo, exec_lo, s2
	s_cbranch_vccnz .LBB0_8
; %bb.7:                                ;   in Loop: Header=BB0_2 Depth=1
	v_dual_mov_b32 v7, v72 :: v_dual_mov_b32 v8, v73
	s_branch .LBB0_2
.LBB0_8:
	s_load_b64 s[0:1], s[0:1], 0x28
	v_mul_hi_u32 v4, 0xaaaaaaab, v3
	s_lshl_b64 s[10:11], s[10:11], 3
                                        ; implicit-def: $vgpr149
	s_delay_alu instid0(SALU_CYCLE_1) | instskip(SKIP_1) | instid1(VALU_DEP_1)
	s_add_u32 s2, s18, s10
	s_addc_u32 s3, s19, s11
	v_lshrrev_b32_e32 v4, 1, v4
	s_delay_alu instid0(VALU_DEP_1) | instskip(SKIP_1) | instid1(VALU_DEP_2)
	v_lshl_add_u32 v5, v4, 1, v4
	v_mul_hi_u32 v4, 0x3c3c3c4, v0
	v_sub_nc_u32_e32 v3, v3, v5
	s_waitcnt lgkmcnt(0)
	v_cmp_gt_u64_e32 vcc_lo, s[0:1], v[72:73]
	v_cmp_le_u64_e64 s0, s[0:1], v[72:73]
	s_delay_alu instid0(VALU_DEP_1) | instskip(NEXT) | instid1(SALU_CYCLE_1)
	s_and_saveexec_b32 s1, s0
	s_xor_b32 s0, exec_lo, s1
; %bb.9:
	s_delay_alu instid0(VALU_DEP_4) | instskip(NEXT) | instid1(VALU_DEP_1)
	v_mul_u32_u24_e32 v1, 0x44, v4
                                        ; implicit-def: $vgpr4
	v_sub_nc_u32_e32 v149, v0, v1
                                        ; implicit-def: $vgpr0
                                        ; implicit-def: $vgpr1_vgpr2
; %bb.10:
	s_or_saveexec_b32 s1, s0
	v_mul_u32_u24_e32 v3, 0x441, v3
	s_delay_alu instid0(VALU_DEP_1)
	v_lshlrev_b32_e32 v90, 4, v3
	s_xor_b32 exec_lo, exec_lo, s1
	s_cbranch_execz .LBB0_12
; %bb.11:
	s_add_u32 s10, s16, s10
	s_addc_u32 s11, s17, s11
	v_lshlrev_b64 v[1:2], 4, v[1:2]
	s_load_b64 s[10:11], s[10:11], 0x0
	s_waitcnt lgkmcnt(0)
	v_mul_lo_u32 v3, s11, v72
	v_mul_lo_u32 v7, s10, v73
	v_mad_u64_u32 v[5:6], null, s10, v72, 0
	s_delay_alu instid0(VALU_DEP_1) | instskip(SKIP_1) | instid1(VALU_DEP_2)
	v_add3_u32 v6, v6, v7, v3
	v_mul_u32_u24_e32 v7, 0x44, v4
	v_lshlrev_b64 v[3:4], 4, v[5:6]
	s_delay_alu instid0(VALU_DEP_2) | instskip(NEXT) | instid1(VALU_DEP_1)
	v_sub_nc_u32_e32 v149, v0, v7
	v_lshlrev_b32_e32 v64, 4, v149
	s_delay_alu instid0(VALU_DEP_3) | instskip(NEXT) | instid1(VALU_DEP_1)
	v_add_co_u32 v0, s0, s4, v3
	v_add_co_ci_u32_e64 v3, s0, s5, v4, s0
	s_delay_alu instid0(VALU_DEP_2) | instskip(NEXT) | instid1(VALU_DEP_1)
	v_add_co_u32 v0, s0, v0, v1
	v_add_co_ci_u32_e64 v1, s0, v3, v2, s0
	s_delay_alu instid0(VALU_DEP_2) | instskip(NEXT) | instid1(VALU_DEP_1)
	v_add_co_u32 v16, s0, v0, v64
	v_add_co_ci_u32_e64 v17, s0, 0, v1, s0
	s_clause 0x3
	global_load_b128 v[0:3], v[16:17], off
	global_load_b128 v[4:7], v[16:17], off offset:1088
	global_load_b128 v[8:11], v[16:17], off offset:2176
	;; [unrolled: 1-line block ×3, first 2 shown]
	v_add_co_u32 v28, s0, 0x1000, v16
	s_delay_alu instid0(VALU_DEP_1) | instskip(SKIP_1) | instid1(VALU_DEP_1)
	v_add_co_ci_u32_e64 v29, s0, 0, v17, s0
	v_add_co_u32 v44, s0, 0x2000, v16
	v_add_co_ci_u32_e64 v45, s0, 0, v17, s0
	v_add_co_u32 v60, s0, 0x3000, v16
	s_delay_alu instid0(VALU_DEP_1)
	v_add_co_ci_u32_e64 v61, s0, 0, v17, s0
	s_clause 0xb
	global_load_b128 v[16:19], v[28:29], off offset:256
	global_load_b128 v[20:23], v[28:29], off offset:1344
	;; [unrolled: 1-line block ×12, first 2 shown]
	v_add3_u32 v64, 0, v90, v64
	s_waitcnt vmcnt(15)
	ds_store_b128 v64, v[0:3]
	s_waitcnt vmcnt(14)
	ds_store_b128 v64, v[4:7] offset:1088
	s_waitcnt vmcnt(13)
	ds_store_b128 v64, v[8:11] offset:2176
	;; [unrolled: 2-line block ×15, first 2 shown]
.LBB0_12:
	s_or_b32 exec_lo, exec_lo, s1
	v_lshlrev_b32_e32 v152, 4, v149
	v_add_nc_u32_e32 v255, 0, v90
	s_waitcnt lgkmcnt(0)
	s_barrier
	buffer_gl0_inv
	v_add_nc_u32_e32 v0, 0, v152
	v_add_nc_u32_e32 v88, v255, v152
	s_mov_b32 s33, exec_lo
	s_delay_alu instid0(VALU_DEP_2)
	v_add_nc_u32_e32 v89, v0, v90
	ds_load_b128 v[0:3], v88
	ds_load_b128 v[8:11], v89 offset:1024
	ds_load_b128 v[82:85], v89 offset:2048
	;; [unrolled: 1-line block ×16, first 2 shown]
	s_waitcnt lgkmcnt(0)
	s_barrier
	buffer_gl0_inv
	v_cmpx_gt_u32_e32 64, v149
	s_cbranch_execz .LBB0_14
; %bb.13:
	v_add_f64 v[74:75], v[2:3], v[10:11]
	v_add_f64 v[76:77], v[0:1], v[8:9]
	;; [unrolled: 1-line block ×3, first 2 shown]
	v_add_f64 v[150:151], v[66:67], -v[62:63]
	v_add_f64 v[86:87], v[58:59], v[54:55]
	v_add_f64 v[24:25], v[58:59], -v[54:55]
	v_add_f64 v[155:156], v[50:51], v[46:47]
	s_mov_b32 s10, 0xc61f0d01
	s_mov_b32 s11, 0xbfd183b1
	v_add_f64 v[26:27], v[82:83], v[12:13]
	s_mov_b32 s16, 0x923c349f
	s_mov_b32 s20, 0x2b2883cd
	;; [unrolled: 1-line block ×28, first 2 shown]
	v_add_f64 v[74:75], v[74:75], v[84:85]
	v_add_f64 v[76:77], v[76:77], v[82:83]
	s_mov_b32 s22, 0xacd6c6b4
	s_mov_b32 s55, 0xbfefdd0d
	;; [unrolled: 1-line block ×18, first 2 shown]
	v_mul_f64 v[161:162], v[70:71], s[14:15]
	v_mul_f64 v[163:164], v[150:151], s[34:35]
	;; [unrolled: 1-line block ×17, first 2 shown]
	v_add_f64 v[74:75], v[74:75], v[18:19]
	v_add_f64 v[76:77], v[76:77], v[16:17]
	s_delay_alu instid0(VALU_DEP_2) | instskip(NEXT) | instid1(VALU_DEP_2)
	v_add_f64 v[74:75], v[74:75], v[34:35]
	v_add_f64 v[76:77], v[76:77], v[32:33]
	s_delay_alu instid0(VALU_DEP_2) | instskip(NEXT) | instid1(VALU_DEP_2)
	;; [unrolled: 3-line block ×4, first 2 shown]
	v_add_f64 v[74:75], v[74:75], v[58:59]
	v_add_f64 v[76:77], v[76:77], v[56:57]
	v_add_f64 v[58:59], v[42:43], -v[38:39]
	s_delay_alu instid0(VALU_DEP_3) | instskip(NEXT) | instid1(VALU_DEP_3)
	v_add_f64 v[78:79], v[74:75], v[66:67]
	v_add_f64 v[80:81], v[76:77], v[64:65]
	v_add_f64 v[66:67], v[50:51], -v[46:47]
	v_add_f64 v[50:51], v[34:35], -v[30:31]
	;; [unrolled: 1-line block ×3, first 2 shown]
	v_add_f64 v[74:75], v[64:65], v[60:61]
	v_add_f64 v[64:65], v[56:57], v[52:53]
	v_mul_f64 v[183:184], v[58:59], s[42:43]
	v_mul_f64 v[211:212], v[58:59], s[24:25]
	;; [unrolled: 1-line block ×3, first 2 shown]
	v_add_f64 v[78:79], v[78:79], v[62:63]
	v_add_f64 v[80:81], v[80:81], v[60:61]
	;; [unrolled: 1-line block ×3, first 2 shown]
	v_add_f64 v[60:61], v[56:57], -v[52:53]
	v_add_f64 v[56:57], v[48:49], v[44:45]
	v_add_f64 v[42:43], v[18:19], -v[22:23]
	v_mul_f64 v[179:180], v[50:51], s[54:55]
	v_mul_f64 v[187:188], v[66:67], s[52:53]
	;; [unrolled: 1-line block ×6, first 2 shown]
	v_add_f64 v[78:79], v[78:79], v[54:55]
	v_add_f64 v[80:81], v[80:81], v[52:53]
	;; [unrolled: 1-line block ×3, first 2 shown]
	v_add_f64 v[34:35], v[84:85], -v[14:15]
	v_add_f64 v[52:53], v[48:49], -v[44:45]
	v_add_f64 v[48:49], v[40:41], v[36:37]
	v_mul_f64 v[175:176], v[42:43], s[28:29]
	v_mul_f64 v[181:182], v[62:63], s[10:11]
	;; [unrolled: 1-line block ×6, first 2 shown]
	v_add_f64 v[78:79], v[78:79], v[46:47]
	v_add_f64 v[80:81], v[80:81], v[44:45]
	v_add_f64 v[44:45], v[40:41], -v[36:37]
	v_add_f64 v[40:41], v[32:33], v[28:29]
	v_add_f64 v[46:47], v[18:19], v[22:23]
	v_mul_f64 v[171:172], v[34:35], s[46:47]
	v_mul_f64 v[177:178], v[54:55], s[14:15]
	;; [unrolled: 1-line block ×7, first 2 shown]
	v_add_f64 v[78:79], v[78:79], v[38:39]
	v_add_f64 v[80:81], v[80:81], v[36:37]
	;; [unrolled: 1-line block ×3, first 2 shown]
	v_add_f64 v[36:37], v[32:33], -v[28:29]
	v_add_f64 v[32:33], v[16:17], v[20:21]
	v_mul_f64 v[173:174], v[46:47], s[20:21]
	v_mul_f64 v[201:202], v[46:47], s[12:13]
	;; [unrolled: 1-line block ×3, first 2 shown]
	v_add_f64 v[78:79], v[78:79], v[30:31]
	v_add_f64 v[80:81], v[80:81], v[28:29]
	v_add_f64 v[28:29], v[82:83], -v[12:13]
	v_add_f64 v[30:31], v[16:17], -v[20:21]
	v_mul_f64 v[169:170], v[38:39], s[26:27]
	v_mul_f64 v[197:198], v[38:39], s[14:15]
	;; [unrolled: 1-line block ×5, first 2 shown]
	v_add_f64 v[78:79], v[78:79], v[22:23]
	v_add_f64 v[80:81], v[80:81], v[20:21]
	v_mul_f64 v[22:23], v[42:43], s[16:17]
	v_mul_f64 v[20:21], v[54:55], s[30:31]
	s_delay_alu instid0(VALU_DEP_4)
	v_add_f64 v[14:15], v[78:79], v[14:15]
	v_add_f64 v[78:79], v[10:11], v[6:7]
	v_add_f64 v[12:13], v[80:81], v[12:13]
	v_add_f64 v[80:81], v[8:9], -v[4:5]
	v_add_f64 v[10:11], v[10:11], -v[6:7]
	v_add_f64 v[8:9], v[8:9], v[4:5]
	v_add_f64 v[6:7], v[14:15], v[6:7]
	v_mul_f64 v[84:85], v[78:79], s[10:11]
	v_add_f64 v[4:5], v[12:13], v[4:5]
	v_mul_f64 v[93:94], v[78:79], s[20:21]
	v_mul_f64 v[95:96], v[78:79], s[26:27]
	;; [unrolled: 1-line block ×12, first 2 shown]
	v_fma_f64 v[103:104], v[80:81], s[16:17], v[84:85]
	scratch_store_b128 off, v[4:7], off     ; 16-byte Folded Spill
	v_fma_f64 v[107:108], v[80:81], s[36:37], v[93:94]
	v_fma_f64 v[109:110], v[80:81], s[40:41], v[95:96]
	;; [unrolled: 1-line block ×15, first 2 shown]
	v_mul_f64 v[78:79], v[10:11], s[50:51]
	v_mul_f64 v[80:81], v[10:11], s[44:45]
	;; [unrolled: 1-line block ×3, first 2 shown]
	v_fma_f64 v[137:138], v[8:9], s[26:27], v[123:124]
	v_fma_f64 v[129:130], v[8:9], s[12:13], v[115:116]
	v_fma_f64 v[115:116], v[8:9], s[12:13], -v[115:116]
	v_fma_f64 v[131:132], v[8:9], s[10:11], v[117:118]
	v_fma_f64 v[117:118], v[8:9], s[10:11], -v[117:118]
	v_fma_f64 v[133:134], v[8:9], s[14:15], v[119:120]
	v_fma_f64 v[119:120], v[8:9], s[14:15], -v[119:120]
	v_fma_f64 v[135:136], v[8:9], s[20:21], v[121:122]
	v_fma_f64 v[121:122], v[8:9], s[20:21], -v[121:122]
	v_fma_f64 v[123:124], v[8:9], s[26:27], -v[123:124]
	v_mul_f64 v[6:7], v[66:67], s[44:45]
	v_add_f64 v[4:5], v[2:3], v[103:104]
	v_add_f64 v[12:13], v[2:3], v[12:13]
	;; [unrolled: 1-line block ×4, first 2 shown]
	v_mul_f64 v[14:15], v[46:47], s[4:5]
	v_add_f64 v[101:102], v[2:3], v[101:102]
	v_add_f64 v[153:154], v[2:3], v[91:92]
	;; [unrolled: 1-line block ×3, first 2 shown]
	v_fma_f64 v[125:126], v[8:9], s[0:1], v[78:79]
	v_fma_f64 v[78:79], v[8:9], s[0:1], -v[78:79]
	v_fma_f64 v[127:128], v[8:9], s[4:5], v[80:81]
	v_fma_f64 v[80:81], v[8:9], s[4:5], -v[80:81]
	;; [unrolled: 2-line block ×3, first 2 shown]
	v_add_f64 v[10:11], v[2:3], v[97:98]
	v_add_f64 v[129:130], v[0:1], v[129:130]
	;; [unrolled: 1-line block ×8, first 2 shown]
	scratch_store_b64 off, v[4:5], off offset:88 ; 8-byte Folded Spill
	v_add_f64 v[4:5], v[2:3], v[107:108]
	v_add_f64 v[107:108], v[2:3], v[93:94]
	v_fma_f64 v[91:92], v[30:31], s[24:25], v[14:15]
	v_add_f64 v[97:98], v[0:1], v[125:126]
	v_add_f64 v[125:126], v[0:1], v[78:79]
	;; [unrolled: 1-line block ×9, first 2 shown]
	v_dual_mov_b32 v79, v25 :: v_dual_mov_b32 v78, v24
	s_delay_alu instid0(VALU_DEP_1)
	v_mul_f64 v[219:220], v[78:79], s[36:37]
	v_mul_f64 v[247:248], v[78:79], s[54:55]
	scratch_store_b64 off, v[4:5], off offset:80 ; 8-byte Folded Spill
	v_add_f64 v[4:5], v[2:3], v[109:110]
	v_add_f64 v[109:110], v[2:3], v[113:114]
	scratch_store_b64 off, v[4:5], off offset:72 ; 8-byte Folded Spill
	v_add_f64 v[4:5], v[0:1], v[137:138]
	scratch_store_b64 off, v[4:5], off offset:64 ; 8-byte Folded Spill
	v_add_f64 v[4:5], v[2:3], v[111:112]
	v_add_f64 v[111:112], v[0:1], v[8:9]
	v_mul_f64 v[8:9], v[38:39], s[30:31]
	scratch_store_b64 off, v[4:5], off offset:40 ; 8-byte Folded Spill
	v_add_f64 v[4:5], v[0:1], v[139:140]
	v_fma_f64 v[0:1], v[28:29], s[38:39], v[8:9]
	v_fma_f64 v[8:9], v[28:29], s[48:49], v[8:9]
	s_delay_alu instid0(VALU_DEP_2) | instskip(SKIP_1) | instid1(VALU_DEP_3)
	v_add_f64 v[0:1], v[0:1], v[10:11]
	v_mul_f64 v[10:11], v[34:35], s[48:49]
	v_add_f64 v[8:9], v[8:9], v[12:13]
	v_fma_f64 v[12:13], v[30:31], s[44:45], v[14:15]
	v_fma_f64 v[14:15], v[74:75], s[14:15], -v[163:164]
	v_add_f64 v[0:1], v[91:92], v[0:1]
	v_fma_f64 v[2:3], v[26:27], s[30:31], v[10:11]
	v_mul_f64 v[91:92], v[42:43], s[44:45]
	v_fma_f64 v[10:11], v[26:27], s[30:31], -v[10:11]
	v_add_f64 v[8:9], v[12:13], v[8:9]
	s_delay_alu instid0(VALU_DEP_4) | instskip(NEXT) | instid1(VALU_DEP_4)
	v_add_f64 v[2:3], v[2:3], v[97:98]
	v_fma_f64 v[93:94], v[32:33], s[4:5], v[91:92]
	s_delay_alu instid0(VALU_DEP_4) | instskip(SKIP_2) | instid1(VALU_DEP_4)
	v_add_f64 v[10:11], v[10:11], v[125:126]
	v_fma_f64 v[12:13], v[32:33], s[4:5], -v[91:92]
	v_mul_f64 v[91:92], v[38:39], s[20:21]
	v_add_f64 v[2:3], v[93:94], v[2:3]
	v_mul_f64 v[93:94], v[54:55], s[26:27]
	s_delay_alu instid0(VALU_DEP_4) | instskip(NEXT) | instid1(VALU_DEP_2)
	v_add_f64 v[10:11], v[12:13], v[10:11]
	v_fma_f64 v[95:96], v[36:37], s[46:47], v[93:94]
	v_fma_f64 v[12:13], v[36:37], s[40:41], v[93:94]
	v_mul_f64 v[93:94], v[34:35], s[36:37]
	s_delay_alu instid0(VALU_DEP_3) | instskip(SKIP_1) | instid1(VALU_DEP_4)
	v_add_f64 v[0:1], v[95:96], v[0:1]
	v_mul_f64 v[95:96], v[50:51], s[40:41]
	v_add_f64 v[8:9], v[12:13], v[8:9]
	s_delay_alu instid0(VALU_DEP_2) | instskip(SKIP_2) | instid1(VALU_DEP_3)
	v_fma_f64 v[97:98], v[40:41], s[26:27], v[95:96]
	v_fma_f64 v[12:13], v[40:41], s[26:27], -v[95:96]
	v_mul_f64 v[95:96], v[46:47], s[14:15]
	v_add_f64 v[2:3], v[97:98], v[2:3]
	v_mul_f64 v[97:98], v[62:63], s[12:13]
	s_delay_alu instid0(VALU_DEP_4) | instskip(NEXT) | instid1(VALU_DEP_2)
	v_add_f64 v[10:11], v[12:13], v[10:11]
	v_fma_f64 v[113:114], v[44:45], s[18:19], v[97:98]
	v_fma_f64 v[12:13], v[44:45], s[52:53], v[97:98]
	;; [unrolled: 1-line block ×4, first 2 shown]
	s_delay_alu instid0(VALU_DEP_4) | instskip(SKIP_2) | instid1(VALU_DEP_2)
	v_add_f64 v[0:1], v[113:114], v[0:1]
	v_mul_f64 v[113:114], v[58:59], s[52:53]
	v_add_f64 v[8:9], v[12:13], v[8:9]
	v_fma_f64 v[123:124], v[48:49], s[12:13], v[113:114]
	v_fma_f64 v[12:13], v[48:49], s[12:13], -v[113:114]
	s_delay_alu instid0(VALU_DEP_2) | instskip(SKIP_1) | instid1(VALU_DEP_3)
	v_add_f64 v[2:3], v[123:124], v[2:3]
	v_mul_f64 v[123:124], v[155:156], s[20:21]
	v_add_f64 v[10:11], v[12:13], v[10:11]
	s_delay_alu instid0(VALU_DEP_2) | instskip(SKIP_1) | instid1(VALU_DEP_2)
	v_fma_f64 v[137:138], v[52:53], s[28:29], v[123:124]
	v_fma_f64 v[12:13], v[52:53], s[36:37], v[123:124]
	v_add_f64 v[0:1], v[137:138], v[0:1]
	v_mul_f64 v[137:138], v[66:67], s[36:37]
	s_delay_alu instid0(VALU_DEP_3) | instskip(NEXT) | instid1(VALU_DEP_2)
	v_add_f64 v[8:9], v[12:13], v[8:9]
	v_fma_f64 v[139:140], v[56:57], s[20:21], v[137:138]
	v_fma_f64 v[12:13], v[56:57], s[20:21], -v[137:138]
	s_delay_alu instid0(VALU_DEP_2) | instskip(SKIP_1) | instid1(VALU_DEP_3)
	v_add_f64 v[2:3], v[139:140], v[2:3]
	v_mul_f64 v[139:140], v[86:87], s[10:11]
	v_add_f64 v[10:11], v[12:13], v[10:11]
	s_delay_alu instid0(VALU_DEP_2) | instskip(SKIP_1) | instid1(VALU_DEP_2)
	v_fma_f64 v[157:158], v[60:61], s[16:17], v[139:140]
	v_fma_f64 v[12:13], v[60:61], s[42:43], v[139:140]
	v_add_f64 v[0:1], v[157:158], v[0:1]
	v_mul_f64 v[157:158], v[24:25], s[42:43]
	s_delay_alu instid0(VALU_DEP_3) | instskip(NEXT) | instid1(VALU_DEP_2)
	v_add_f64 v[8:9], v[12:13], v[8:9]
	v_fma_f64 v[159:160], v[64:65], s[10:11], v[157:158]
	v_fma_f64 v[12:13], v[64:65], s[10:11], -v[157:158]
	s_delay_alu instid0(VALU_DEP_2) | instskip(SKIP_1) | instid1(VALU_DEP_3)
	v_add_f64 v[159:160], v[159:160], v[2:3]
	v_fma_f64 v[2:3], v[76:77], s[54:55], v[161:162]
	v_add_f64 v[12:13], v[12:13], v[10:11]
	v_fma_f64 v[10:11], v[76:77], s[34:35], v[161:162]
	v_mul_f64 v[161:162], v[70:71], s[10:11]
	s_delay_alu instid0(VALU_DEP_4) | instskip(SKIP_2) | instid1(VALU_DEP_2)
	v_add_f64 v[2:3], v[2:3], v[0:1]
	v_fma_f64 v[0:1], v[74:75], s[14:15], v[163:164]
	v_mul_f64 v[163:164], v[150:151], s[42:43]
	v_add_f64 v[0:1], v[0:1], v[159:160]
	scratch_store_b64 off, v[4:5], off offset:32 ; 8-byte Folded Spill
	v_mul_f64 v[4:5], v[86:87], s[12:13]
	scratch_store_b128 off, v[0:3], off offset:16 ; 16-byte Folded Spill
	v_add_f64 v[0:1], v[14:15], v[12:13]
	v_fma_f64 v[12:13], v[28:29], s[28:29], v[91:92]
	v_fma_f64 v[14:15], v[26:27], s[20:21], v[93:94]
	;; [unrolled: 1-line block ×3, first 2 shown]
	v_fma_f64 v[93:94], v[26:27], s[20:21], -v[93:94]
	v_add_f64 v[2:3], v[10:11], v[8:9]
	v_mul_f64 v[8:9], v[155:156], s[4:5]
	v_add_f64 v[12:13], v[12:13], v[99:100]
	v_add_f64 v[14:15], v[14:15], v[127:128]
	;; [unrolled: 1-line block ×4, first 2 shown]
	v_mul_f64 v[141:142], v[62:63], s[14:15]
	v_mul_f64 v[143:144], v[58:59], s[34:35]
	scratch_store_b128 off, v[0:3], off offset:48 ; 16-byte Folded Spill
	v_mul_f64 v[2:3], v[78:79], s[18:19]
	v_mul_f64 v[0:1], v[70:71], s[26:27]
	;; [unrolled: 1-line block ×3, first 2 shown]
	v_add_f64 v[12:13], v[97:98], v[12:13]
	v_mul_f64 v[97:98], v[42:43], s[54:55]
	v_add_f64 v[91:92], v[95:96], v[91:92]
	s_delay_alu instid0(VALU_DEP_2) | instskip(SKIP_2) | instid1(VALU_DEP_3)
	v_fma_f64 v[99:100], v[32:33], s[14:15], v[97:98]
	v_fma_f64 v[95:96], v[32:33], s[14:15], -v[97:98]
	v_fma_f64 v[97:98], v[74:75], s[10:11], -v[163:164]
	v_add_f64 v[14:15], v[99:100], v[14:15]
	v_mul_f64 v[99:100], v[54:55], s[12:13]
	s_delay_alu instid0(VALU_DEP_4) | instskip(NEXT) | instid1(VALU_DEP_2)
	v_add_f64 v[93:94], v[95:96], v[93:94]
	v_fma_f64 v[113:114], v[36:37], s[52:53], v[99:100]
	v_fma_f64 v[95:96], v[36:37], s[18:19], v[99:100]
	s_delay_alu instid0(VALU_DEP_2) | instskip(SKIP_1) | instid1(VALU_DEP_3)
	v_add_f64 v[12:13], v[113:114], v[12:13]
	v_mul_f64 v[113:114], v[50:51], s[18:19]
	v_add_f64 v[91:92], v[95:96], v[91:92]
	s_delay_alu instid0(VALU_DEP_2) | instskip(SKIP_1) | instid1(VALU_DEP_2)
	v_fma_f64 v[123:124], v[40:41], s[12:13], v[113:114]
	v_fma_f64 v[95:96], v[40:41], s[12:13], -v[113:114]
	v_add_f64 v[14:15], v[123:124], v[14:15]
	v_mul_f64 v[123:124], v[62:63], s[30:31]
	s_delay_alu instid0(VALU_DEP_3) | instskip(SKIP_1) | instid1(VALU_DEP_3)
	v_add_f64 v[93:94], v[95:96], v[93:94]
	v_mul_f64 v[62:63], v[62:63], s[0:1]
	v_fma_f64 v[125:126], v[44:45], s[48:49], v[123:124]
	v_fma_f64 v[95:96], v[44:45], s[38:39], v[123:124]
	v_mul_f64 v[123:124], v[38:39], s[10:11]
	s_delay_alu instid0(VALU_DEP_3) | instskip(SKIP_1) | instid1(VALU_DEP_4)
	v_add_f64 v[12:13], v[125:126], v[12:13]
	v_mul_f64 v[125:126], v[58:59], s[38:39]
	v_add_f64 v[91:92], v[95:96], v[91:92]
	s_delay_alu instid0(VALU_DEP_2) | instskip(SKIP_2) | instid1(VALU_DEP_3)
	v_fma_f64 v[127:128], v[48:49], s[30:31], v[125:126]
	v_fma_f64 v[95:96], v[48:49], s[30:31], -v[125:126]
	v_mul_f64 v[125:126], v[34:35], s[16:17]
	v_add_f64 v[14:15], v[127:128], v[14:15]
	v_mul_f64 v[127:128], v[155:156], s[0:1]
	s_delay_alu instid0(VALU_DEP_4) | instskip(NEXT) | instid1(VALU_DEP_2)
	v_add_f64 v[93:94], v[95:96], v[93:94]
	v_fma_f64 v[137:138], v[52:53], s[22:23], v[127:128]
	v_fma_f64 v[95:96], v[52:53], s[50:51], v[127:128]
	v_mul_f64 v[127:128], v[46:47], s[30:31]
	s_delay_alu instid0(VALU_DEP_3) | instskip(SKIP_1) | instid1(VALU_DEP_4)
	v_add_f64 v[12:13], v[137:138], v[12:13]
	v_mul_f64 v[137:138], v[66:67], s[50:51]
	v_add_f64 v[91:92], v[95:96], v[91:92]
	s_delay_alu instid0(VALU_DEP_4) | instskip(NEXT) | instid1(VALU_DEP_3)
	v_fma_f64 v[99:100], v[30:31], s[48:49], v[127:128]
	v_fma_f64 v[139:140], v[56:57], s[0:1], v[137:138]
	v_fma_f64 v[95:96], v[56:57], s[0:1], -v[137:138]
	v_mul_f64 v[137:138], v[54:55], s[4:5]
	v_mul_f64 v[54:55], v[54:55], s[20:21]
	s_delay_alu instid0(VALU_DEP_4) | instskip(SKIP_2) | instid1(VALU_DEP_2)
	v_add_f64 v[14:15], v[139:140], v[14:15]
	v_mul_f64 v[139:140], v[86:87], s[26:27]
	v_add_f64 v[93:94], v[95:96], v[93:94]
	v_fma_f64 v[157:158], v[60:61], s[46:47], v[139:140]
	v_fma_f64 v[95:96], v[60:61], s[40:41], v[139:140]
	v_mul_f64 v[139:140], v[50:51], s[44:45]
	v_mul_f64 v[50:51], v[50:51], s[28:29]
	s_delay_alu instid0(VALU_DEP_4) | instskip(SKIP_2) | instid1(VALU_DEP_2)
	v_add_f64 v[12:13], v[157:158], v[12:13]
	v_mul_f64 v[157:158], v[24:25], s[40:41]
	v_add_f64 v[91:92], v[95:96], v[91:92]
	v_fma_f64 v[95:96], v[64:65], s[26:27], -v[157:158]
	v_fma_f64 v[159:160], v[64:65], s[26:27], v[157:158]
	v_mul_f64 v[157:158], v[155:156], s[26:27]
	v_mul_f64 v[155:156], v[155:156], s[14:15]
	s_delay_alu instid0(VALU_DEP_4) | instskip(SKIP_4) | instid1(VALU_DEP_4)
	v_add_f64 v[95:96], v[95:96], v[93:94]
	v_fma_f64 v[93:94], v[76:77], s[42:43], v[161:162]
	v_add_f64 v[159:160], v[159:160], v[14:15]
	v_fma_f64 v[14:15], v[76:77], s[16:17], v[161:162]
	v_mul_f64 v[161:162], v[86:87], s[0:1]
	v_add_f64 v[93:94], v[93:94], v[91:92]
	v_add_f64 v[91:92], v[97:98], v[95:96]
	v_fma_f64 v[95:96], v[28:29], s[42:43], v[123:124]
	v_fma_f64 v[97:98], v[26:27], s[10:11], v[125:126]
	v_add_f64 v[147:148], v[14:15], v[12:13]
	v_fma_f64 v[12:13], v[74:75], s[10:11], v[163:164]
	v_mul_f64 v[163:164], v[24:25], s[50:51]
	v_mul_f64 v[24:25], v[46:47], s[10:11]
	v_fma_f64 v[14:15], v[52:53], s[44:45], v[8:9]
	v_mul_f64 v[46:47], v[46:47], s[26:27]
	v_fma_f64 v[8:9], v[52:53], s[24:25], v[8:9]
	v_add_f64 v[95:96], v[95:96], v[101:102]
	v_add_f64 v[97:98], v[97:98], v[129:130]
	v_mul_f64 v[129:130], v[42:43], s[38:39]
	v_add_f64 v[145:146], v[12:13], v[159:160]
	v_mul_f64 v[159:160], v[66:67], s[46:47]
	v_fma_f64 v[101:102], v[26:27], s[26:27], -v[171:172]
	v_mul_f64 v[12:13], v[58:59], s[28:29]
	v_mul_f64 v[42:43], v[42:43], s[40:41]
	;; [unrolled: 1-line block ×4, first 2 shown]
	v_add_f64 v[95:96], v[99:100], v[95:96]
	v_fma_f64 v[99:100], v[32:33], s[30:31], v[129:130]
	v_add_f64 v[101:102], v[101:102], v[111:112]
	v_fma_f64 v[111:112], v[30:31], s[22:23], v[229:230]
	v_fma_f64 v[10:11], v[48:49], s[20:21], -v[12:13]
	v_fma_f64 v[12:13], v[48:49], s[20:21], v[12:13]
	v_add_f64 v[97:98], v[99:100], v[97:98]
	v_fma_f64 v[99:100], v[36:37], s[24:25], v[137:138]
	s_delay_alu instid0(VALU_DEP_1) | instskip(SKIP_1) | instid1(VALU_DEP_1)
	v_add_f64 v[95:96], v[99:100], v[95:96]
	v_fma_f64 v[99:100], v[40:41], s[4:5], v[139:140]
	v_add_f64 v[97:98], v[99:100], v[97:98]
	v_fma_f64 v[99:100], v[44:45], s[54:55], v[141:142]
	s_delay_alu instid0(VALU_DEP_1) | instskip(SKIP_1) | instid1(VALU_DEP_1)
	v_add_f64 v[95:96], v[99:100], v[95:96]
	;; [unrolled: 5-line block ×6, first 2 shown]
	v_fma_f64 v[109:110], v[30:31], s[28:29], v[173:174]
	v_add_f64 v[99:100], v[109:110], v[99:100]
	v_fma_f64 v[109:110], v[32:33], s[20:21], -v[175:176]
	s_delay_alu instid0(VALU_DEP_1) | instskip(SKIP_1) | instid1(VALU_DEP_1)
	v_add_f64 v[101:102], v[109:110], v[101:102]
	v_fma_f64 v[109:110], v[36:37], s[54:55], v[177:178]
	v_add_f64 v[99:100], v[109:110], v[99:100]
	v_fma_f64 v[109:110], v[40:41], s[14:15], -v[179:180]
	s_delay_alu instid0(VALU_DEP_1) | instskip(SKIP_1) | instid1(VALU_DEP_1)
	v_add_f64 v[101:102], v[109:110], v[101:102]
	;; [unrolled: 5-line block ×13, first 2 shown]
	v_fma_f64 v[109:110], v[28:29], s[52:53], v[225:226]
	v_add_f64 v[107:108], v[109:110], v[107:108]
	v_fma_f64 v[109:110], v[26:27], s[12:13], -v[227:228]
	s_delay_alu instid0(VALU_DEP_2) | instskip(NEXT) | instid1(VALU_DEP_2)
	v_add_f64 v[107:108], v[111:112], v[107:108]
	v_add_f64 v[109:110], v[109:110], v[121:122]
	v_fma_f64 v[111:112], v[32:33], s[0:1], -v[231:232]
	v_mul_f64 v[121:122], v[78:79], s[38:39]
	s_delay_alu instid0(VALU_DEP_2) | instskip(SKIP_1) | instid1(VALU_DEP_1)
	v_add_f64 v[109:110], v[111:112], v[109:110]
	v_fma_f64 v[111:112], v[36:37], s[16:17], v[233:234]
	v_add_f64 v[107:108], v[111:112], v[107:108]
	v_fma_f64 v[111:112], v[40:41], s[10:11], -v[235:236]
	s_delay_alu instid0(VALU_DEP_1) | instskip(SKIP_1) | instid1(VALU_DEP_1)
	v_add_f64 v[109:110], v[111:112], v[109:110]
	v_fma_f64 v[111:112], v[44:45], s[40:41], v[237:238]
	v_add_f64 v[107:108], v[111:112], v[107:108]
	v_fma_f64 v[111:112], v[48:49], s[26:27], -v[239:240]
	s_delay_alu instid0(VALU_DEP_1) | instskip(SKIP_1) | instid1(VALU_DEP_1)
	;; [unrolled: 5-line block ×5, first 2 shown]
	v_add_f64 v[107:108], v[107:108], v[111:112]
	v_fma_f64 v[111:112], v[28:29], s[50:51], v[253:254]
	v_add_f64 v[111:112], v[111:112], v[153:154]
	v_mul_f64 v[153:154], v[34:35], s[50:51]
	v_mul_f64 v[34:35], v[34:35], s[24:25]
	s_delay_alu instid0(VALU_DEP_2) | instskip(NEXT) | instid1(VALU_DEP_1)
	v_fma_f64 v[113:114], v[26:27], s[0:1], -v[153:154]
	v_add_f64 v[113:114], v[113:114], v[119:120]
	v_fma_f64 v[119:120], v[30:31], s[16:17], v[24:25]
	s_delay_alu instid0(VALU_DEP_1) | instskip(SKIP_2) | instid1(VALU_DEP_2)
	v_add_f64 v[111:112], v[119:120], v[111:112]
	v_fma_f64 v[119:120], v[32:33], s[10:11], -v[22:23]
	v_fma_f64 v[22:23], v[32:33], s[10:11], v[22:23]
	v_add_f64 v[113:114], v[119:120], v[113:114]
	v_fma_f64 v[119:120], v[36:37], s[48:49], v[20:21]
	v_fma_f64 v[20:21], v[36:37], s[38:39], v[20:21]
	s_delay_alu instid0(VALU_DEP_2) | instskip(SKIP_2) | instid1(VALU_DEP_2)
	v_add_f64 v[111:112], v[119:120], v[111:112]
	v_fma_f64 v[119:120], v[40:41], s[30:31], -v[18:19]
	v_fma_f64 v[18:19], v[40:41], s[30:31], v[18:19]
	v_add_f64 v[113:114], v[119:120], v[113:114]
	v_fma_f64 v[119:120], v[44:45], s[28:29], v[16:17]
	v_fma_f64 v[16:17], v[44:45], s[36:37], v[16:17]
	s_delay_alu instid0(VALU_DEP_3) | instskip(NEXT) | instid1(VALU_DEP_3)
	v_add_f64 v[10:11], v[10:11], v[113:114]
	v_add_f64 v[111:112], v[119:120], v[111:112]
	v_mul_f64 v[119:120], v[86:87], s[30:31]
	s_delay_alu instid0(VALU_DEP_2) | instskip(SKIP_2) | instid1(VALU_DEP_2)
	v_add_f64 v[14:15], v[14:15], v[111:112]
	v_fma_f64 v[111:112], v[56:57], s[4:5], -v[6:7]
	v_fma_f64 v[6:7], v[56:57], s[4:5], v[6:7]
	v_add_f64 v[10:11], v[111:112], v[10:11]
	v_fma_f64 v[111:112], v[60:61], s[18:19], v[4:5]
	v_fma_f64 v[4:5], v[60:61], s[52:53], v[4:5]
	s_delay_alu instid0(VALU_DEP_2) | instskip(SKIP_2) | instid1(VALU_DEP_2)
	v_add_f64 v[14:15], v[111:112], v[14:15]
	v_fma_f64 v[111:112], v[64:65], s[12:13], -v[2:3]
	v_fma_f64 v[2:3], v[64:65], s[12:13], v[2:3]
	v_add_f64 v[10:11], v[111:112], v[10:11]
	v_fma_f64 v[111:112], v[76:77], s[40:41], v[0:1]
	v_fma_f64 v[0:1], v[76:77], s[46:47], v[0:1]
	s_delay_alu instid0(VALU_DEP_2) | instskip(SKIP_2) | instid1(VALU_DEP_2)
	v_add_f64 v[113:114], v[111:112], v[14:15]
	v_mul_f64 v[14:15], v[150:151], s[40:41]
	v_mul_f64 v[150:151], v[150:151], s[52:53]
	v_fma_f64 v[111:112], v[74:75], s[26:27], -v[14:15]
	s_delay_alu instid0(VALU_DEP_1) | instskip(SKIP_1) | instid1(VALU_DEP_1)
	v_add_f64 v[111:112], v[111:112], v[10:11]
	v_mul_f64 v[10:11], v[38:39], s[4:5]
	v_fma_f64 v[38:39], v[28:29], s[24:25], v[10:11]
	v_fma_f64 v[10:11], v[28:29], s[44:45], v[10:11]
	s_delay_alu instid0(VALU_DEP_2) | instskip(SKIP_2) | instid1(VALU_DEP_2)
	v_add_f64 v[38:39], v[38:39], v[115:116]
	v_fma_f64 v[115:116], v[26:27], s[4:5], -v[34:35]
	v_fma_f64 v[34:35], v[26:27], s[4:5], v[34:35]
	v_add_f64 v[115:116], v[115:116], v[117:118]
	v_fma_f64 v[117:118], v[30:31], s[40:41], v[46:47]
	s_delay_alu instid0(VALU_DEP_3) | instskip(NEXT) | instid1(VALU_DEP_2)
	v_add_f64 v[34:35], v[34:35], v[131:132]
	v_add_f64 v[38:39], v[117:118], v[38:39]
	v_fma_f64 v[117:118], v[32:33], s[26:27], -v[42:43]
	s_delay_alu instid0(VALU_DEP_1) | instskip(SKIP_1) | instid1(VALU_DEP_1)
	v_add_f64 v[115:116], v[117:118], v[115:116]
	v_fma_f64 v[117:118], v[36:37], s[28:29], v[54:55]
	v_add_f64 v[38:39], v[117:118], v[38:39]
	v_fma_f64 v[117:118], v[40:41], s[20:21], -v[50:51]
	s_delay_alu instid0(VALU_DEP_1) | instskip(SKIP_1) | instid1(VALU_DEP_1)
	v_add_f64 v[115:116], v[117:118], v[115:116]
	v_fma_f64 v[117:118], v[44:45], s[50:51], v[62:63]
	;; [unrolled: 5-line block ×5, first 2 shown]
	v_add_f64 v[117:118], v[117:118], v[38:39]
	v_fma_f64 v[38:39], v[74:75], s[12:13], -v[150:151]
	s_delay_alu instid0(VALU_DEP_1) | instskip(SKIP_2) | instid1(VALU_DEP_2)
	v_add_f64 v[115:116], v[38:39], v[115:116]
	v_fma_f64 v[38:39], v[28:29], s[16:17], v[123:124]
	v_fma_f64 v[123:124], v[74:75], s[20:21], -v[167:168]
	v_add_f64 v[38:39], v[38:39], v[80:81]
	v_fma_f64 v[80:81], v[26:27], s[10:11], -v[125:126]
	s_delay_alu instid0(VALU_DEP_1) | instskip(SKIP_1) | instid1(VALU_DEP_1)
	v_add_f64 v[80:81], v[80:81], v[82:83]
	v_fma_f64 v[82:83], v[30:31], s[38:39], v[127:128]
	v_add_f64 v[38:39], v[82:83], v[38:39]
	v_fma_f64 v[82:83], v[32:33], s[30:31], -v[129:130]
	s_delay_alu instid0(VALU_DEP_1) | instskip(SKIP_1) | instid1(VALU_DEP_1)
	v_add_f64 v[80:81], v[82:83], v[80:81]
	v_fma_f64 v[82:83], v[36:37], s[44:45], v[137:138]
	;; [unrolled: 5-line block ×5, first 2 shown]
	v_add_f64 v[38:39], v[82:83], v[38:39]
	v_fma_f64 v[82:83], v[64:65], s[0:1], -v[163:164]
	s_delay_alu instid0(VALU_DEP_1) | instskip(SKIP_1) | instid1(VALU_DEP_2)
	v_add_f64 v[80:81], v[82:83], v[80:81]
	v_fma_f64 v[82:83], v[76:77], s[36:37], v[165:166]
	v_add_f64 v[137:138], v[123:124], v[80:81]
	s_delay_alu instid0(VALU_DEP_2) | instskip(SKIP_4) | instid1(VALU_DEP_1)
	v_add_f64 v[139:140], v[82:83], v[38:39]
	scratch_load_b64 v[38:39], off, off offset:88 ; 8-byte Folded Reload
	s_waitcnt vmcnt(0)
	v_add_f64 v[10:11], v[10:11], v[38:39]
	v_fma_f64 v[38:39], v[30:31], s[46:47], v[46:47]
	v_add_f64 v[10:11], v[38:39], v[10:11]
	v_fma_f64 v[38:39], v[32:33], s[26:27], v[42:43]
	v_fma_f64 v[42:43], v[74:75], s[12:13], v[150:151]
	s_delay_alu instid0(VALU_DEP_2) | instskip(SKIP_1) | instid1(VALU_DEP_1)
	v_add_f64 v[34:35], v[38:39], v[34:35]
	v_fma_f64 v[38:39], v[36:37], s[36:37], v[54:55]
	v_add_f64 v[10:11], v[38:39], v[10:11]
	v_fma_f64 v[38:39], v[40:41], s[20:21], v[50:51]
	s_delay_alu instid0(VALU_DEP_1) | instskip(SKIP_1) | instid1(VALU_DEP_1)
	v_add_f64 v[34:35], v[38:39], v[34:35]
	v_fma_f64 v[38:39], v[44:45], s[22:23], v[62:63]
	v_add_f64 v[10:11], v[38:39], v[10:11]
	v_fma_f64 v[38:39], v[48:49], s[0:1], v[58:59]
	s_delay_alu instid0(VALU_DEP_1) | instskip(SKIP_1) | instid1(VALU_DEP_1)
	;; [unrolled: 5-line block ×3, first 2 shown]
	v_add_f64 v[34:35], v[38:39], v[34:35]
	v_fma_f64 v[38:39], v[60:61], s[48:49], v[119:120]
	v_add_f64 v[10:11], v[38:39], v[10:11]
	v_fma_f64 v[38:39], v[64:65], s[30:31], v[121:122]
	s_delay_alu instid0(VALU_DEP_1) | instskip(SKIP_1) | instid1(VALU_DEP_2)
	v_add_f64 v[34:35], v[38:39], v[34:35]
	v_fma_f64 v[38:39], v[76:77], s[18:19], v[70:71]
	v_add_f64 v[123:124], v[42:43], v[34:35]
	v_fma_f64 v[34:35], v[26:27], s[0:1], v[153:154]
	s_delay_alu instid0(VALU_DEP_3) | instskip(SKIP_2) | instid1(VALU_DEP_4)
	v_add_f64 v[125:126], v[38:39], v[10:11]
	v_fma_f64 v[10:11], v[28:29], s[22:23], v[253:254]
	v_fma_f64 v[38:39], v[30:31], s[42:43], v[24:25]
	v_add_f64 v[34:35], v[34:35], v[133:134]
	s_delay_alu instid0(VALU_DEP_3) | instskip(NEXT) | instid1(VALU_DEP_2)
	v_add_f64 v[10:11], v[10:11], v[84:85]
	v_add_f64 v[22:23], v[22:23], v[34:35]
	s_delay_alu instid0(VALU_DEP_2) | instskip(NEXT) | instid1(VALU_DEP_2)
	v_add_f64 v[10:11], v[38:39], v[10:11]
	v_add_f64 v[18:19], v[18:19], v[22:23]
	s_delay_alu instid0(VALU_DEP_2) | instskip(NEXT) | instid1(VALU_DEP_2)
	;; [unrolled: 3-line block ×4, first 2 shown]
	v_add_f64 v[8:9], v[8:9], v[10:11]
	v_add_f64 v[2:3], v[2:3], v[6:7]
	v_fma_f64 v[6:7], v[74:75], s[26:27], v[14:15]
	s_delay_alu instid0(VALU_DEP_3)
	v_add_f64 v[4:5], v[4:5], v[8:9]
	scratch_load_b64 v[8:9], off, off offset:32 ; 8-byte Folded Reload
	v_add_f64 v[127:128], v[6:7], v[2:3]
	scratch_load_b64 v[2:3], off, off offset:80 ; 8-byte Folded Reload
	v_add_f64 v[129:130], v[0:1], v[4:5]
	v_fma_f64 v[0:1], v[28:29], s[18:19], v[225:226]
	v_fma_f64 v[4:5], v[30:31], s[50:51], v[229:230]
	;; [unrolled: 1-line block ×3, first 2 shown]
	s_waitcnt vmcnt(0)
	s_delay_alu instid0(VALU_DEP_3) | instskip(SKIP_1) | instid1(VALU_DEP_2)
	v_add_f64 v[0:1], v[0:1], v[2:3]
	v_fma_f64 v[2:3], v[26:27], s[12:13], v[227:228]
	v_add_f64 v[0:1], v[4:5], v[0:1]
	s_delay_alu instid0(VALU_DEP_2) | instskip(SKIP_1) | instid1(VALU_DEP_1)
	v_add_f64 v[2:3], v[2:3], v[135:136]
	v_fma_f64 v[4:5], v[32:33], s[0:1], v[231:232]
	v_add_f64 v[2:3], v[4:5], v[2:3]
	v_fma_f64 v[4:5], v[36:37], s[42:43], v[233:234]
	s_delay_alu instid0(VALU_DEP_1) | instskip(SKIP_1) | instid1(VALU_DEP_1)
	v_add_f64 v[0:1], v[4:5], v[0:1]
	v_fma_f64 v[4:5], v[40:41], s[10:11], v[235:236]
	v_add_f64 v[2:3], v[4:5], v[2:3]
	v_fma_f64 v[4:5], v[44:45], s[46:47], v[237:238]
	s_delay_alu instid0(VALU_DEP_1) | instskip(SKIP_1) | instid1(VALU_DEP_1)
	;; [unrolled: 5-line block ×4, first 2 shown]
	v_add_f64 v[0:1], v[4:5], v[0:1]
	v_fma_f64 v[4:5], v[64:65], s[14:15], v[247:248]
	v_add_f64 v[2:3], v[4:5], v[2:3]
	v_fma_f64 v[4:5], v[76:77], s[24:25], v[249:250]
	s_delay_alu instid0(VALU_DEP_2)
	v_add_f64 v[131:132], v[6:7], v[2:3]
	scratch_load_b64 v[2:3], off, off offset:72 ; 8-byte Folded Reload
	v_add_f64 v[133:134], v[4:5], v[0:1]
	scratch_load_b64 v[4:5], off, off offset:64 ; 8-byte Folded Reload
	v_fma_f64 v[0:1], v[28:29], s[34:35], v[197:198]
	v_fma_f64 v[6:7], v[74:75], s[30:31], v[223:224]
	s_waitcnt vmcnt(1)
	s_delay_alu instid0(VALU_DEP_2) | instskip(SKIP_2) | instid1(VALU_DEP_1)
	v_add_f64 v[0:1], v[0:1], v[2:3]
	v_fma_f64 v[2:3], v[26:27], s[14:15], v[199:200]
	s_waitcnt vmcnt(0)
	v_add_f64 v[2:3], v[2:3], v[4:5]
	v_fma_f64 v[4:5], v[30:31], s[18:19], v[201:202]
	s_delay_alu instid0(VALU_DEP_1) | instskip(SKIP_1) | instid1(VALU_DEP_1)
	v_add_f64 v[0:1], v[4:5], v[0:1]
	v_fma_f64 v[4:5], v[32:33], s[12:13], v[203:204]
	v_add_f64 v[2:3], v[4:5], v[2:3]
	v_fma_f64 v[4:5], v[36:37], s[22:23], v[205:206]
	s_delay_alu instid0(VALU_DEP_1) | instskip(SKIP_1) | instid1(VALU_DEP_1)
	v_add_f64 v[0:1], v[4:5], v[0:1]
	v_fma_f64 v[4:5], v[40:41], s[0:1], v[207:208]
	;; [unrolled: 5-line block ×5, first 2 shown]
	v_add_f64 v[2:3], v[4:5], v[2:3]
	v_fma_f64 v[4:5], v[76:77], s[38:39], v[221:222]
	s_delay_alu instid0(VALU_DEP_2)
	v_add_f64 v[82:83], v[6:7], v[2:3]
	scratch_load_b64 v[6:7], off, off offset:40 ; 8-byte Folded Reload
	v_add_f64 v[84:85], v[4:5], v[0:1]
	v_fma_f64 v[0:1], v[28:29], s[40:41], v[169:170]
	v_fma_f64 v[2:3], v[26:27], s[26:27], v[171:172]
	;; [unrolled: 1-line block ×3, first 2 shown]
	s_delay_alu instid0(VALU_DEP_2) | instskip(SKIP_4) | instid1(VALU_DEP_2)
	v_add_f64 v[2:3], v[2:3], v[8:9]
	v_fma_f64 v[8:9], v[36:37], s[34:35], v[177:178]
	s_waitcnt vmcnt(0)
	v_add_f64 v[0:1], v[0:1], v[6:7]
	v_fma_f64 v[6:7], v[32:33], s[20:21], v[175:176]
	v_add_f64 v[0:1], v[4:5], v[0:1]
	v_fma_f64 v[4:5], v[40:41], s[14:15], v[179:180]
	s_delay_alu instid0(VALU_DEP_3) | instskip(SKIP_1) | instid1(VALU_DEP_4)
	v_add_f64 v[2:3], v[6:7], v[2:3]
	v_fma_f64 v[6:7], v[44:45], s[16:17], v[181:182]
	v_add_f64 v[0:1], v[8:9], v[0:1]
	v_fma_f64 v[8:9], v[48:49], s[10:11], v[183:184]
	s_delay_alu instid0(VALU_DEP_4) | instskip(SKIP_1) | instid1(VALU_DEP_4)
	v_add_f64 v[2:3], v[4:5], v[2:3]
	v_fma_f64 v[4:5], v[52:53], s[18:19], v[185:186]
	v_add_f64 v[0:1], v[6:7], v[0:1]
	v_fma_f64 v[6:7], v[56:57], s[12:13], v[187:188]
	s_delay_alu instid0(VALU_DEP_4) | instskip(SKIP_1) | instid1(VALU_DEP_4)
	;; [unrolled: 5-line block ×3, first 2 shown]
	v_add_f64 v[2:3], v[6:7], v[2:3]
	v_fma_f64 v[6:7], v[76:77], s[22:23], v[193:194]
	v_add_f64 v[0:1], v[8:9], v[0:1]
	v_fma_f64 v[8:9], v[74:75], s[0:1], v[195:196]
	s_delay_alu instid0(VALU_DEP_4) | instskip(NEXT) | instid1(VALU_DEP_3)
	v_add_f64 v[2:3], v[4:5], v[2:3]
	v_add_f64 v[18:19], v[6:7], v[0:1]
	v_mul_u32_u24_e32 v0, 0x110, v149
	s_delay_alu instid0(VALU_DEP_3)
	v_add_f64 v[16:17], v[8:9], v[2:3]
	scratch_load_b128 v[1:4], off, off      ; 16-byte Folded Reload
	v_add3_u32 v0, 0, v0, v90
	s_waitcnt vmcnt(0)
	ds_store_b128 v0, v[1:4]
	ds_store_b128 v0, v[99:102] offset:16
	ds_store_b128 v0, v[103:106] offset:32
	;; [unrolled: 1-line block ×7, first 2 shown]
	scratch_load_b128 v[1:4], off, off offset:48 ; 16-byte Folded Reload
	s_waitcnt vmcnt(0)
	ds_store_b128 v0, v[1:4] offset:128
	scratch_load_b128 v[1:4], off, off offset:16 ; 16-byte Folded Reload
	s_waitcnt vmcnt(0)
	ds_store_b128 v0, v[1:4] offset:144
	ds_store_b128 v0, v[145:148] offset:160
	;; [unrolled: 1-line block ×8, first 2 shown]
.LBB0_14:
	s_or_b32 exec_lo, exec_lo, s33
	v_and_b32_e32 v0, 0xff, v149
	v_add_nc_u16 v6, v149, 0x44
	v_add_nc_u16 v1, v149, 0x88
	s_load_b64 s[2:3], s[2:3], 0x0
	s_waitcnt lgkmcnt(0)
	s_waitcnt_vscnt null, 0x0
	v_mul_lo_u16 v2, 0xf1, v0
	v_dual_mov_b32 v150, 0 :: v_dual_and_b32 v3, 0xff, v6
	v_add_nc_u32_e32 v0, 0xcc, v149
	v_and_b32_e32 v11, 0xff, v1
	s_delay_alu instid0(VALU_DEP_4) | instskip(NEXT) | instid1(VALU_DEP_4)
	v_lshrrev_b16 v10, 12, v2
	v_mul_lo_u16 v2, 0xf1, v3
	s_barrier
	v_and_b32_e32 v4, 0xffff, v0
	buffer_gl0_inv
	v_mul_lo_u16 v7, v10, 17
	v_lshrrev_b16 v3, 12, v2
	v_mul_lo_u16 v2, 0xf1, v11
	v_mul_u32_u24_e32 v5, 0xf0f1, v4
	v_mul_lo_u16 v11, 0x79, v11
	v_sub_nc_u16 v8, v149, v7
	v_mul_lo_u16 v9, v3, 17
	v_lshrrev_b16 v7, 12, v2
	v_lshrrev_b32_e32 v4, 20, v5
	v_lshrrev_b16 v11, 13, v11
	v_and_b32_e32 v2, 0xff, v8
	v_sub_nc_u16 v6, v6, v9
	v_mul_lo_u16 v8, v7, 17
	v_mul_lo_u16 v9, v4, 17
	v_lshrrev_b32_e32 v5, 22, v5
	v_mul_u32_u24_e32 v12, 3, v2
	v_and_b32_e32 v6, 0xff, v6
	v_sub_nc_u16 v8, v1, v8
	v_sub_nc_u16 v9, v0, v9
	v_and_b32_e32 v10, 0xffff, v10
	v_lshlrev_b32_e32 v20, 4, v12
	v_mul_u32_u24_e32 v21, 3, v6
	v_and_b32_e32 v8, 0xff, v8
	v_and_b32_e32 v9, 0xffff, v9
	v_mul_lo_u16 v11, 0x44, v11
	s_clause 0x1
	global_load_b128 v[12:15], v20, s[8:9] offset:16
	global_load_b128 v[16:19], v20, s[8:9]
	v_lshlrev_b32_e32 v32, 4, v21
	v_mul_u32_u24_e32 v28, 3, v8
	global_load_b128 v[20:23], v20, s[8:9] offset:32
	v_mul_u32_u24_e32 v40, 3, v9
	v_mul_lo_u16 v5, 0x44, v5
	global_load_b128 v[24:27], v32, s[8:9]
	v_lshlrev_b32_e32 v44, 4, v28
	s_clause 0x2
	global_load_b128 v[28:31], v32, s[8:9] offset:16
	global_load_b128 v[32:35], v32, s[8:9] offset:32
	global_load_b128 v[36:39], v44, s[8:9]
	v_lshlrev_b32_e32 v56, 4, v40
	s_clause 0x4
	global_load_b128 v[40:43], v44, s[8:9] offset:16
	global_load_b128 v[44:47], v44, s[8:9] offset:32
	global_load_b128 v[48:51], v56, s[8:9]
	global_load_b128 v[52:55], v56, s[8:9] offset:16
	global_load_b128 v[56:59], v56, s[8:9] offset:32
	ds_load_b128 v[60:63], v89 offset:4352
	ds_load_b128 v[64:67], v89 offset:8704
	;; [unrolled: 1-line block ×12, first 2 shown]
	v_and_b32_e32 v3, 0xffff, v3
	v_mad_u32_u24 v10, 0x440, v10, 0
	v_and_b32_e32 v7, 0xffff, v7
	v_sub_nc_u16 v1, v1, v11
	v_sub_nc_u16 v0, v0, v5
	v_lshlrev_b32_e32 v5, 4, v2
	v_mad_u32_u24 v3, 0x440, v3, 0
	v_lshlrev_b32_e32 v6, 4, v6
	v_mad_u32_u24 v4, 0x440, v4, 0
	v_mad_u32_u24 v7, 0x440, v7, 0
	v_lshlrev_b32_e32 v8, 4, v8
	v_lshlrev_b32_e32 v9, 4, v9
	v_and_b32_e32 v2, 0xff, v1
	v_add3_u32 v1, v10, v5, v90
	v_add3_u32 v3, v3, v6, v90
	;; [unrolled: 1-line block ×4, first 2 shown]
	s_add_u32 s1, s8, 0x42f0
	s_addc_u32 s4, s9, 0
	s_mov_b32 s5, exec_lo
	s_waitcnt vmcnt(11) lgkmcnt(10)
	v_mul_f64 v[86:87], v[66:67], v[14:15]
	s_waitcnt vmcnt(10)
	v_mul_f64 v[70:71], v[62:63], v[18:19]
	v_mul_f64 v[18:19], v[60:61], v[18:19]
	;; [unrolled: 1-line block ×3, first 2 shown]
	s_waitcnt vmcnt(9) lgkmcnt(9)
	v_mul_f64 v[119:120], v[76:77], v[22:23]
	v_mul_f64 v[22:23], v[74:75], v[22:23]
	s_waitcnt vmcnt(8) lgkmcnt(8)
	v_mul_f64 v[121:122], v[80:81], v[26:27]
	v_mul_f64 v[26:27], v[78:79], v[26:27]
	;; [unrolled: 3-line block ×10, first 2 shown]
	v_fma_f64 v[64:65], v[64:65], v[12:13], -v[86:87]
	v_fma_f64 v[60:61], v[60:61], v[16:17], -v[70:71]
	v_fma_f64 v[62:63], v[62:63], v[16:17], v[18:19]
	v_fma_f64 v[66:67], v[66:67], v[12:13], v[14:15]
	v_fma_f64 v[70:71], v[74:75], v[20:21], -v[119:120]
	v_fma_f64 v[74:75], v[76:77], v[20:21], v[22:23]
	v_fma_f64 v[76:77], v[78:79], v[24:25], -v[121:122]
	v_fma_f64 v[78:79], v[80:81], v[24:25], v[26:27]
	v_fma_f64 v[80:81], v[82:83], v[28:29], -v[123:124]
	v_fma_f64 v[28:29], v[84:85], v[28:29], v[30:31]
	v_fma_f64 v[30:31], v[91:92], v[32:33], -v[125:126]
	v_fma_f64 v[32:33], v[93:94], v[32:33], v[34:35]
	v_fma_f64 v[34:35], v[95:96], v[36:37], -v[127:128]
	v_fma_f64 v[36:37], v[97:98], v[36:37], v[38:39]
	v_fma_f64 v[38:39], v[99:100], v[40:41], -v[129:130]
	v_fma_f64 v[40:41], v[101:102], v[40:41], v[42:43]
	v_fma_f64 v[42:43], v[103:104], v[44:45], -v[131:132]
	v_fma_f64 v[44:45], v[105:106], v[44:45], v[46:47]
	v_fma_f64 v[46:47], v[107:108], v[48:49], -v[133:134]
	v_fma_f64 v[48:49], v[109:110], v[48:49], v[50:51]
	v_fma_f64 v[50:51], v[111:112], v[52:53], -v[135:136]
	v_fma_f64 v[52:53], v[113:114], v[52:53], v[54:55]
	v_fma_f64 v[54:55], v[115:116], v[56:57], -v[137:138]
	v_fma_f64 v[56:57], v[117:118], v[56:57], v[58:59]
	ds_load_b128 v[12:15], v88
	ds_load_b128 v[16:19], v89 offset:1088
	ds_load_b128 v[20:23], v89 offset:2176
	;; [unrolled: 1-line block ×3, first 2 shown]
	s_waitcnt lgkmcnt(0)
	s_barrier
	buffer_gl0_inv
	v_add_f64 v[58:59], v[12:13], -v[64:65]
	v_add_f64 v[64:65], v[14:15], -v[66:67]
	;; [unrolled: 1-line block ×16, first 2 shown]
	v_fma_f64 v[50:51], v[12:13], 2.0, -v[58:59]
	v_fma_f64 v[54:55], v[14:15], 2.0, -v[64:65]
	;; [unrolled: 1-line block ×4, first 2 shown]
	v_add_f64 v[12:13], v[58:59], -v[70:71]
	v_fma_f64 v[60:61], v[16:17], 2.0, -v[74:75]
	v_fma_f64 v[62:63], v[18:19], 2.0, -v[80:81]
	;; [unrolled: 1-line block ×4, first 2 shown]
	v_add_f64 v[14:15], v[64:65], v[66:67]
	v_add_f64 v[16:17], v[74:75], -v[30:31]
	v_fma_f64 v[78:79], v[20:21], 2.0, -v[82:83]
	v_fma_f64 v[93:94], v[22:23], 2.0, -v[84:85]
	;; [unrolled: 1-line block ×4, first 2 shown]
	v_add_f64 v[18:19], v[80:81], v[28:29]
	v_fma_f64 v[95:96], v[24:25], 2.0, -v[86:87]
	v_fma_f64 v[97:98], v[26:27], 2.0, -v[91:92]
	;; [unrolled: 1-line block ×4, first 2 shown]
	v_add_f64 v[24:25], v[82:83], -v[32:33]
	v_add_f64 v[26:27], v[84:85], v[38:39]
	v_add_f64 v[38:39], v[91:92], v[44:45]
	v_mul_u32_u24_e32 v44, 3, v149
	s_delay_alu instid0(VALU_DEP_1)
	v_lshlrev_b32_e32 v70, 4, v44
	v_add_f64 v[20:21], v[50:51], -v[42:43]
	v_add_f64 v[22:23], v[54:55], -v[52:53]
	v_fma_f64 v[44:45], v[58:59], 2.0, -v[12:13]
	v_add_f64 v[28:29], v[60:61], -v[56:57]
	v_add_f64 v[30:31], v[62:63], -v[76:77]
	;; [unrolled: 1-line block ×7, first 2 shown]
	v_fma_f64 v[46:47], v[64:65], 2.0, -v[14:15]
	v_fma_f64 v[48:49], v[74:75], 2.0, -v[16:17]
	;; [unrolled: 1-line block ×15, first 2 shown]
	ds_store_b128 v1, v[20:23] offset:544
	ds_store_b128 v1, v[12:15] offset:816
	ds_store_b128 v1, v[52:55]
	ds_store_b128 v1, v[44:47] offset:272
	ds_store_b128 v3, v[28:31] offset:544
	;; [unrolled: 1-line block ×3, first 2 shown]
	ds_store_b128 v3, v[60:63]
	ds_store_b128 v3, v[48:51] offset:272
	ds_store_b128 v5, v[64:67]
	ds_store_b128 v5, v[56:59] offset:272
	ds_store_b128 v5, v[32:35] offset:544
	;; [unrolled: 1-line block ×3, first 2 shown]
	ds_store_b128 v4, v[78:81]
	ds_store_b128 v4, v[74:77] offset:272
	ds_store_b128 v4, v[40:43] offset:544
	;; [unrolled: 1-line block ×3, first 2 shown]
	v_mul_u32_u24_e32 v1, 3, v2
	v_and_b32_e32 v3, 0xffff, v0
	s_waitcnt lgkmcnt(0)
	s_barrier
	buffer_gl0_inv
	v_lshlrev_b32_e32 v0, 4, v1
	v_mul_u32_u24_e32 v1, 3, v3
	s_clause 0x3
	global_load_b128 v[4:7], v70, s[8:9] offset:816
	global_load_b128 v[8:11], v70, s[8:9] offset:832
	;; [unrolled: 1-line block ×4, first 2 shown]
	v_lshlrev_b32_e32 v1, 4, v1
	s_clause 0x4
	global_load_b128 v[20:23], v0, s[8:9] offset:832
	global_load_b128 v[24:27], v0, s[8:9] offset:848
	global_load_b128 v[28:31], v1, s[8:9] offset:816
	global_load_b128 v[32:35], v1, s[8:9] offset:832
	global_load_b128 v[36:39], v1, s[8:9] offset:848
	ds_load_b128 v[40:43], v89 offset:4352
	ds_load_b128 v[44:47], v89 offset:8704
	;; [unrolled: 1-line block ×12, first 2 shown]
	s_waitcnt vmcnt(8) lgkmcnt(11)
	v_mul_f64 v[0:1], v[42:43], v[6:7]
	v_mul_f64 v[70:71], v[40:41], v[6:7]
	s_waitcnt vmcnt(7) lgkmcnt(10)
	v_mul_f64 v[86:87], v[46:47], v[10:11]
	v_mul_f64 v[99:100], v[44:45], v[10:11]
	;; [unrolled: 3-line block ×3, first 2 shown]
	s_waitcnt lgkmcnt(8)
	v_mul_f64 v[105:106], v[54:55], v[6:7]
	v_mul_f64 v[6:7], v[52:53], v[6:7]
	s_waitcnt lgkmcnt(7)
	v_mul_f64 v[107:108], v[58:59], v[10:11]
	v_mul_f64 v[10:11], v[56:57], v[10:11]
	;; [unrolled: 3-line block ×3, first 2 shown]
	s_waitcnt vmcnt(5) lgkmcnt(5)
	v_mul_f64 v[111:112], v[66:67], v[18:19]
	v_mul_f64 v[18:19], v[64:65], v[18:19]
	s_waitcnt vmcnt(4) lgkmcnt(4)
	v_mul_f64 v[113:114], v[76:77], v[22:23]
	v_mul_f64 v[22:23], v[74:75], v[22:23]
	;; [unrolled: 3-line block ×6, first 2 shown]
	v_fma_f64 v[0:1], v[40:41], v[4:5], -v[0:1]
	v_fma_f64 v[40:41], v[42:43], v[4:5], v[70:71]
	v_fma_f64 v[42:43], v[44:45], v[8:9], -v[86:87]
	v_fma_f64 v[44:45], v[46:47], v[8:9], v[99:100]
	;; [unrolled: 2-line block ×12, first 2 shown]
	ds_load_b128 v[4:7], v88
	ds_load_b128 v[8:11], v89 offset:1088
	ds_load_b128 v[12:15], v89 offset:2176
	;; [unrolled: 1-line block ×3, first 2 shown]
	s_waitcnt lgkmcnt(0)
	s_barrier
	buffer_gl0_inv
	v_add_f64 v[38:39], v[4:5], -v[42:43]
	v_add_f64 v[42:43], v[6:7], -v[44:45]
	;; [unrolled: 1-line block ×16, first 2 shown]
	v_fma_f64 v[4:5], v[4:5], 2.0, -v[38:39]
	v_fma_f64 v[76:77], v[6:7], 2.0, -v[42:43]
	;; [unrolled: 1-line block ×4, first 2 shown]
	v_add_f64 v[6:7], v[38:39], -v[46:47]
	v_fma_f64 v[80:81], v[8:9], 2.0, -v[48:49]
	v_fma_f64 v[82:83], v[10:11], 2.0, -v[54:55]
	;; [unrolled: 1-line block ×4, first 2 shown]
	v_add_f64 v[8:9], v[42:43], v[44:45]
	v_add_f64 v[10:11], v[48:49], -v[58:59]
	v_fma_f64 v[84:85], v[12:13], 2.0, -v[60:61]
	v_fma_f64 v[86:87], v[14:15], 2.0, -v[66:67]
	;; [unrolled: 1-line block ×4, first 2 shown]
	v_add_f64 v[14:15], v[60:61], -v[20:21]
	v_add_f64 v[12:13], v[54:55], v[56:57]
	v_fma_f64 v[64:65], v[16:17], 2.0, -v[74:75]
	v_fma_f64 v[91:92], v[18:19], 2.0, -v[78:79]
	;; [unrolled: 1-line block ×4, first 2 shown]
	v_add_f64 v[16:17], v[66:67], v[70:71]
	v_add_f64 v[30:31], v[74:75], -v[30:31]
	v_add_f64 v[32:33], v[78:79], v[32:33]
	v_add_f64 v[18:19], v[4:5], -v[0:1]
	v_add_f64 v[20:21], v[76:77], -v[22:23]
	v_fma_f64 v[38:39], v[38:39], 2.0, -v[6:7]
	v_add_f64 v[22:23], v[80:81], -v[24:25]
	v_add_f64 v[24:25], v[82:83], -v[34:35]
	v_add_f64 v[26:27], v[84:85], -v[36:37]
	v_add_f64 v[28:29], v[86:87], -v[40:41]
	v_fma_f64 v[40:41], v[42:43], 2.0, -v[8:9]
	v_fma_f64 v[44:45], v[54:55], 2.0, -v[12:13]
	;; [unrolled: 1-line block ×4, first 2 shown]
	v_add_f64 v[34:35], v[64:65], -v[50:51]
	v_add_f64 v[36:37], v[91:92], -v[52:53]
	v_fma_f64 v[48:49], v[66:67], 2.0, -v[16:17]
	v_fma_f64 v[62:63], v[74:75], 2.0, -v[30:31]
	v_lshlrev_b32_e32 v66, 4, v2
	v_lshlrev_b32_e32 v67, 4, v3
	s_delay_alu instid0(VALU_DEP_2) | instskip(NEXT) | instid1(VALU_DEP_2)
	v_add3_u32 v66, 0, v66, v90
	v_add3_u32 v67, 0, v67, v90
	v_fma_f64 v[50:51], v[4:5], 2.0, -v[18:19]
	v_fma_f64 v[52:53], v[76:77], 2.0, -v[20:21]
	v_lshlrev_b64 v[4:5], 4, v[149:150]
	v_fma_f64 v[54:55], v[80:81], 2.0, -v[22:23]
	v_fma_f64 v[56:57], v[82:83], 2.0, -v[24:25]
	s_delay_alu instid0(VALU_DEP_3) | instskip(NEXT) | instid1(VALU_DEP_1)
	v_add_co_u32 v0, s0, s8, v4
	v_add_co_ci_u32_e64 v1, s0, s9, v5, s0
	v_fma_f64 v[58:59], v[84:85], 2.0, -v[26:27]
	v_fma_f64 v[60:61], v[86:87], 2.0, -v[28:29]
	s_delay_alu instid0(VALU_DEP_4) | instskip(NEXT) | instid1(VALU_DEP_1)
	v_add_co_u32 v2, s0, 0x1000, v0
	v_add_co_ci_u32_e64 v3, s0, 0, v1, s0
	v_fma_f64 v[74:75], v[64:65], 2.0, -v[34:35]
	v_fma_f64 v[76:77], v[91:92], 2.0, -v[36:37]
	;; [unrolled: 1-line block ×3, first 2 shown]
	ds_store_b128 v89, v[18:21] offset:2176
	ds_store_b128 v89, v[6:9] offset:3264
	;; [unrolled: 1-line block ×4, first 2 shown]
	ds_store_b128 v89, v[50:53]
	ds_store_b128 v89, v[38:41] offset:1088
	ds_store_b128 v89, v[54:57] offset:4352
	;; [unrolled: 1-line block ×11, first 2 shown]
	s_waitcnt lgkmcnt(0)
	s_barrier
	buffer_gl0_inv
	s_clause 0x3
	global_load_b128 v[6:9], v[0:1], off offset:4080
	global_load_b128 v[10:13], v[2:3], off offset:1072
	;; [unrolled: 1-line block ×4, first 2 shown]
	ds_load_b128 v[22:25], v89 offset:8704
	ds_load_b128 v[26:29], v89 offset:9792
	;; [unrolled: 1-line block ×8, first 2 shown]
	s_waitcnt vmcnt(3) lgkmcnt(7)
	v_mul_f64 v[2:3], v[24:25], v[8:9]
	v_mul_f64 v[54:55], v[22:23], v[8:9]
	s_waitcnt vmcnt(2) lgkmcnt(6)
	v_mul_f64 v[56:57], v[28:29], v[12:13]
	v_mul_f64 v[58:59], v[26:27], v[12:13]
	;; [unrolled: 3-line block ×4, first 2 shown]
	s_waitcnt lgkmcnt(3)
	v_mul_f64 v[70:71], v[40:41], v[8:9]
	v_mul_f64 v[8:9], v[38:39], v[8:9]
	s_waitcnt lgkmcnt(2)
	v_mul_f64 v[74:75], v[44:45], v[12:13]
	v_mul_f64 v[12:13], v[42:43], v[12:13]
	;; [unrolled: 3-line block ×4, first 2 shown]
	v_fma_f64 v[2:3], v[22:23], v[6:7], -v[2:3]
	v_fma_f64 v[54:55], v[24:25], v[6:7], v[54:55]
	v_fma_f64 v[56:57], v[26:27], v[10:11], -v[56:57]
	v_fma_f64 v[58:59], v[28:29], v[10:11], v[58:59]
	v_fma_f64 v[60:61], v[30:31], v[14:15], -v[60:61]
	v_fma_f64 v[62:63], v[32:33], v[14:15], v[62:63]
	v_fma_f64 v[64:65], v[34:35], v[18:19], -v[64:65]
	v_fma_f64 v[66:67], v[36:37], v[18:19], v[66:67]
	v_fma_f64 v[70:71], v[38:39], v[6:7], -v[70:71]
	v_fma_f64 v[80:81], v[40:41], v[6:7], v[8:9]
	v_fma_f64 v[74:75], v[42:43], v[10:11], -v[74:75]
	v_fma_f64 v[82:83], v[44:45], v[10:11], v[12:13]
	v_fma_f64 v[76:77], v[46:47], v[14:15], -v[76:77]
	v_fma_f64 v[84:85], v[48:49], v[14:15], v[16:17]
	v_fma_f64 v[78:79], v[50:51], v[18:19], -v[78:79]
	v_fma_f64 v[86:87], v[52:53], v[18:19], v[20:21]
	ds_load_b128 v[6:9], v88
	ds_load_b128 v[10:13], v89 offset:1088
	ds_load_b128 v[14:17], v89 offset:2176
	ds_load_b128 v[18:21], v89 offset:3264
	ds_load_b128 v[22:25], v89 offset:4352
	ds_load_b128 v[26:29], v89 offset:5440
	ds_load_b128 v[30:33], v89 offset:6528
	ds_load_b128 v[34:37], v89 offset:7616
	s_waitcnt lgkmcnt(0)
	s_barrier
	buffer_gl0_inv
	v_add_f64 v[38:39], v[6:7], -v[2:3]
	v_add_f64 v[40:41], v[8:9], -v[54:55]
	;; [unrolled: 1-line block ×16, first 2 shown]
	v_add_co_u32 v66, s0, 0x2000, v0
	s_delay_alu instid0(VALU_DEP_1)
	v_add_co_ci_u32_e64 v67, s0, 0, v1, s0
	v_fma_f64 v[6:7], v[6:7], 2.0, -v[38:39]
	v_fma_f64 v[8:9], v[8:9], 2.0, -v[40:41]
	;; [unrolled: 1-line block ×16, first 2 shown]
	ds_store_b128 v89, v[38:41] offset:4352
	ds_store_b128 v89, v[42:45] offset:5440
	;; [unrolled: 1-line block ×8, first 2 shown]
	ds_store_b128 v89, v[6:9]
	ds_store_b128 v89, v[10:13] offset:1088
	ds_store_b128 v89, v[14:17] offset:2176
	;; [unrolled: 1-line block ×7, first 2 shown]
	s_waitcnt lgkmcnt(0)
	s_barrier
	buffer_gl0_inv
	s_clause 0x1
	global_load_b128 v[6:9], v[66:67], off offset:240
	global_load_b128 v[10:13], v[66:67], off offset:1328
	v_add_co_u32 v30, s0, 0x3000, v0
	s_delay_alu instid0(VALU_DEP_1)
	v_add_co_ci_u32_e64 v31, s0, 0, v1, s0
	s_clause 0x5
	global_load_b128 v[0:3], v[66:67], off offset:2416
	global_load_b128 v[14:17], v[66:67], off offset:3504
	global_load_b128 v[18:21], v[30:31], off offset:496
	global_load_b128 v[22:25], v[30:31], off offset:1584
	global_load_b128 v[26:29], v[30:31], off offset:2672
	global_load_b128 v[30:33], v[30:31], off offset:3760
	ds_load_b128 v[34:37], v89 offset:8704
	ds_load_b128 v[38:41], v89 offset:9792
	;; [unrolled: 1-line block ×8, first 2 shown]
	s_waitcnt vmcnt(7) lgkmcnt(7)
	v_mul_f64 v[66:67], v[36:37], v[8:9]
	v_mul_f64 v[8:9], v[34:35], v[8:9]
	s_waitcnt vmcnt(6) lgkmcnt(6)
	v_mul_f64 v[70:71], v[40:41], v[12:13]
	v_mul_f64 v[12:13], v[38:39], v[12:13]
	;; [unrolled: 3-line block ×8, first 2 shown]
	v_fma_f64 v[34:35], v[34:35], v[6:7], -v[66:67]
	v_fma_f64 v[36:37], v[36:37], v[6:7], v[8:9]
	v_fma_f64 v[38:39], v[38:39], v[10:11], -v[70:71]
	v_fma_f64 v[40:41], v[40:41], v[10:11], v[12:13]
	;; [unrolled: 2-line block ×8, first 2 shown]
	ds_load_b128 v[0:3], v88
	ds_load_b128 v[6:9], v89 offset:1088
	ds_load_b128 v[10:13], v89 offset:2176
	;; [unrolled: 1-line block ×7, first 2 shown]
	s_waitcnt lgkmcnt(0)
	s_barrier
	buffer_gl0_inv
	v_add_f64 v[34:35], v[0:1], -v[34:35]
	v_add_f64 v[36:37], v[2:3], -v[36:37]
	v_add_f64 v[38:39], v[6:7], -v[38:39]
	v_add_f64 v[40:41], v[8:9], -v[40:41]
	v_add_f64 v[42:43], v[10:11], -v[42:43]
	v_add_f64 v[44:45], v[12:13], -v[44:45]
	v_add_f64 v[46:47], v[14:15], -v[46:47]
	v_add_f64 v[48:49], v[16:17], -v[48:49]
	v_add_f64 v[50:51], v[18:19], -v[50:51]
	v_add_f64 v[52:53], v[20:21], -v[52:53]
	v_add_f64 v[54:55], v[22:23], -v[54:55]
	v_add_f64 v[56:57], v[24:25], -v[56:57]
	v_add_f64 v[58:59], v[26:27], -v[58:59]
	v_add_f64 v[60:61], v[28:29], -v[60:61]
	v_add_f64 v[62:63], v[30:31], -v[62:63]
	v_add_f64 v[64:65], v[32:33], -v[64:65]
	v_fma_f64 v[0:1], v[0:1], 2.0, -v[34:35]
	v_fma_f64 v[2:3], v[2:3], 2.0, -v[36:37]
	;; [unrolled: 1-line block ×16, first 2 shown]
	ds_store_b128 v89, v[34:37] offset:8704
	ds_store_b128 v89, v[38:41] offset:9792
	;; [unrolled: 1-line block ×8, first 2 shown]
	ds_store_b128 v89, v[0:3]
	ds_store_b128 v89, v[6:9] offset:1088
	ds_store_b128 v89, v[10:13] offset:2176
	;; [unrolled: 1-line block ×7, first 2 shown]
	s_waitcnt lgkmcnt(0)
	s_barrier
	buffer_gl0_inv
	ds_load_b128 v[0:3], v88
	v_sub_nc_u32_e32 v10, v255, v152
                                        ; implicit-def: $vgpr8_vgpr9
                                        ; implicit-def: $vgpr6_vgpr7
	v_cmpx_ne_u32_e32 0, v149
	s_xor_b32 s5, exec_lo, s5
	s_cbranch_execz .LBB0_16
; %bb.15:
	v_add_co_u32 v6, s0, s1, v4
	s_delay_alu instid0(VALU_DEP_1)
	v_add_co_ci_u32_e64 v7, s0, s4, v5, s0
	global_load_b128 v[11:14], v[6:7], off
	ds_load_b128 v[6:9], v10 offset:17408
	s_waitcnt lgkmcnt(0)
	v_add_f64 v[15:16], v[0:1], -v[6:7]
	v_add_f64 v[17:18], v[2:3], v[8:9]
	v_add_f64 v[2:3], v[2:3], -v[8:9]
	v_add_f64 v[0:1], v[0:1], v[6:7]
	s_delay_alu instid0(VALU_DEP_4) | instskip(NEXT) | instid1(VALU_DEP_4)
	v_mul_f64 v[8:9], v[15:16], 0.5
	v_mul_f64 v[15:16], v[17:18], 0.5
	s_delay_alu instid0(VALU_DEP_4) | instskip(SKIP_1) | instid1(VALU_DEP_3)
	v_mul_f64 v[2:3], v[2:3], 0.5
	s_waitcnt vmcnt(0)
	v_mul_f64 v[6:7], v[8:9], v[13:14]
	s_delay_alu instid0(VALU_DEP_2) | instskip(SKIP_1) | instid1(VALU_DEP_3)
	v_fma_f64 v[17:18], v[15:16], v[13:14], v[2:3]
	v_fma_f64 v[2:3], v[15:16], v[13:14], -v[2:3]
	v_fma_f64 v[13:14], v[0:1], 0.5, v[6:7]
	v_fma_f64 v[0:1], v[0:1], 0.5, -v[6:7]
	s_delay_alu instid0(VALU_DEP_4) | instskip(NEXT) | instid1(VALU_DEP_4)
	v_fma_f64 v[17:18], -v[11:12], v[8:9], v[17:18]
	v_fma_f64 v[2:3], -v[11:12], v[8:9], v[2:3]
	ds_store_b64 v88, v[17:18] offset:8
	ds_store_b64 v10, v[2:3] offset:17416
	v_fma_f64 v[6:7], v[15:16], v[11:12], v[13:14]
	v_fma_f64 v[8:9], -v[15:16], v[11:12], v[0:1]
                                        ; implicit-def: $vgpr0_vgpr1
.LBB0_16:
	s_and_not1_saveexec_b32 s0, s5
	s_cbranch_execz .LBB0_18
; %bb.17:
	s_waitcnt lgkmcnt(0)
	v_add_f64 v[6:7], v[0:1], v[2:3]
	v_add_f64 v[8:9], v[0:1], -v[2:3]
	s_mov_b32 s8, 0
	s_delay_alu instid0(SALU_CYCLE_1) | instskip(NEXT) | instid1(SALU_CYCLE_1)
	s_mov_b32 s9, s8
	v_dual_mov_b32 v0, s8 :: v_dual_mov_b32 v1, s9
	ds_store_b64 v88, v[0:1] offset:8
	ds_store_b64 v10, v[0:1] offset:17416
	ds_load_b64 v[0:1], v255 offset:8712
	s_waitcnt lgkmcnt(0)
	v_xor_b32_e32 v1, 0x80000000, v1
	ds_store_b64 v255, v[0:1] offset:8712
.LBB0_18:
	s_or_b32 exec_lo, exec_lo, s0
	v_add_co_u32 v19, s0, s1, v4
	s_delay_alu instid0(VALU_DEP_1)
	v_add_co_ci_u32_e64 v20, s0, s4, v5, s0
	v_add_nc_u32_e32 v23, 0x800, v88
	s_waitcnt lgkmcnt(0)
	s_clause 0x1
	global_load_b128 v[0:3], v[19:20], off offset:1088
	global_load_b128 v[11:14], v[19:20], off offset:2176
	ds_store_b64 v88, v[6:7]
	ds_store_b64 v10, v[8:9] offset:17408
	ds_load_b128 v[4:7], v88 offset:1088
	ds_load_b128 v[15:18], v10 offset:16320
	s_waitcnt lgkmcnt(0)
	v_add_f64 v[8:9], v[4:5], -v[15:16]
	v_add_f64 v[21:22], v[6:7], v[17:18]
	v_add_f64 v[6:7], v[6:7], -v[17:18]
	v_add_f64 v[4:5], v[4:5], v[15:16]
	s_delay_alu instid0(VALU_DEP_4) | instskip(NEXT) | instid1(VALU_DEP_4)
	v_mul_f64 v[8:9], v[8:9], 0.5
	v_mul_f64 v[17:18], v[21:22], 0.5
	s_delay_alu instid0(VALU_DEP_4) | instskip(SKIP_1) | instid1(VALU_DEP_3)
	v_mul_f64 v[6:7], v[6:7], 0.5
	s_waitcnt vmcnt(1)
	v_mul_f64 v[15:16], v[8:9], v[2:3]
	s_delay_alu instid0(VALU_DEP_2) | instskip(SKIP_1) | instid1(VALU_DEP_3)
	v_fma_f64 v[21:22], v[17:18], v[2:3], v[6:7]
	v_fma_f64 v[2:3], v[17:18], v[2:3], -v[6:7]
	v_fma_f64 v[6:7], v[4:5], 0.5, v[15:16]
	v_fma_f64 v[4:5], v[4:5], 0.5, -v[15:16]
	s_delay_alu instid0(VALU_DEP_4) | instskip(NEXT) | instid1(VALU_DEP_4)
	v_fma_f64 v[15:16], -v[0:1], v[8:9], v[21:22]
	v_fma_f64 v[2:3], -v[0:1], v[8:9], v[2:3]
	s_delay_alu instid0(VALU_DEP_4) | instskip(NEXT) | instid1(VALU_DEP_4)
	v_fma_f64 v[8:9], v[17:18], v[0:1], v[6:7]
	v_fma_f64 v[0:1], -v[17:18], v[0:1], v[4:5]
	global_load_b128 v[4:7], v[19:20], off offset:3264
	v_add_co_u32 v19, s0, 0x1000, v19
	s_delay_alu instid0(VALU_DEP_1)
	v_add_co_ci_u32_e64 v20, s0, 0, v20, s0
	ds_store_2addr_b64 v88, v[8:9], v[15:16] offset0:136 offset1:137
	ds_store_b128 v10, v[0:3] offset:16320
	ds_load_b128 v[0:3], v88 offset:2176
	ds_load_b128 v[15:18], v10 offset:15232
	s_waitcnt lgkmcnt(0)
	v_add_f64 v[8:9], v[0:1], -v[15:16]
	v_add_f64 v[21:22], v[2:3], v[17:18]
	v_add_f64 v[2:3], v[2:3], -v[17:18]
	v_add_f64 v[0:1], v[0:1], v[15:16]
	s_delay_alu instid0(VALU_DEP_4) | instskip(NEXT) | instid1(VALU_DEP_4)
	v_mul_f64 v[8:9], v[8:9], 0.5
	v_mul_f64 v[17:18], v[21:22], 0.5
	s_delay_alu instid0(VALU_DEP_4) | instskip(SKIP_1) | instid1(VALU_DEP_3)
	v_mul_f64 v[2:3], v[2:3], 0.5
	s_waitcnt vmcnt(1)
	v_mul_f64 v[15:16], v[8:9], v[13:14]
	s_delay_alu instid0(VALU_DEP_2) | instskip(SKIP_1) | instid1(VALU_DEP_3)
	v_fma_f64 v[21:22], v[17:18], v[13:14], v[2:3]
	v_fma_f64 v[2:3], v[17:18], v[13:14], -v[2:3]
	v_fma_f64 v[13:14], v[0:1], 0.5, v[15:16]
	v_fma_f64 v[0:1], v[0:1], 0.5, -v[15:16]
	s_delay_alu instid0(VALU_DEP_4) | instskip(NEXT) | instid1(VALU_DEP_4)
	v_fma_f64 v[15:16], -v[11:12], v[8:9], v[21:22]
	v_fma_f64 v[2:3], -v[11:12], v[8:9], v[2:3]
	s_delay_alu instid0(VALU_DEP_4) | instskip(NEXT) | instid1(VALU_DEP_4)
	v_fma_f64 v[8:9], v[17:18], v[11:12], v[13:14]
	v_fma_f64 v[0:1], -v[17:18], v[11:12], v[0:1]
	global_load_b128 v[11:14], v[19:20], off offset:256
	ds_store_2addr_b64 v23, v[8:9], v[15:16] offset0:16 offset1:17
	ds_store_b128 v10, v[0:3] offset:15232
	ds_load_b128 v[0:3], v88 offset:3264
	ds_load_b128 v[15:18], v10 offset:14144
	s_waitcnt lgkmcnt(0)
	v_add_f64 v[8:9], v[0:1], -v[15:16]
	v_add_f64 v[21:22], v[2:3], v[17:18]
	v_add_f64 v[2:3], v[2:3], -v[17:18]
	v_add_f64 v[0:1], v[0:1], v[15:16]
	s_delay_alu instid0(VALU_DEP_4) | instskip(NEXT) | instid1(VALU_DEP_4)
	v_mul_f64 v[8:9], v[8:9], 0.5
	v_mul_f64 v[17:18], v[21:22], 0.5
	s_delay_alu instid0(VALU_DEP_4) | instskip(SKIP_1) | instid1(VALU_DEP_3)
	v_mul_f64 v[2:3], v[2:3], 0.5
	s_waitcnt vmcnt(1)
	v_mul_f64 v[15:16], v[8:9], v[6:7]
	s_delay_alu instid0(VALU_DEP_2) | instskip(SKIP_1) | instid1(VALU_DEP_3)
	v_fma_f64 v[21:22], v[17:18], v[6:7], v[2:3]
	v_fma_f64 v[2:3], v[17:18], v[6:7], -v[2:3]
	v_fma_f64 v[6:7], v[0:1], 0.5, v[15:16]
	v_fma_f64 v[0:1], v[0:1], 0.5, -v[15:16]
	s_delay_alu instid0(VALU_DEP_4) | instskip(NEXT) | instid1(VALU_DEP_4)
	v_fma_f64 v[15:16], -v[4:5], v[8:9], v[21:22]
	v_fma_f64 v[2:3], -v[4:5], v[8:9], v[2:3]
	s_delay_alu instid0(VALU_DEP_4) | instskip(NEXT) | instid1(VALU_DEP_4)
	v_fma_f64 v[8:9], v[17:18], v[4:5], v[6:7]
	v_fma_f64 v[0:1], -v[17:18], v[4:5], v[0:1]
	global_load_b128 v[4:7], v[19:20], off offset:1344
	ds_store_2addr_b64 v23, v[8:9], v[15:16] offset0:152 offset1:153
	ds_store_b128 v10, v[0:3] offset:14144
	ds_load_b128 v[0:3], v88 offset:4352
	ds_load_b128 v[15:18], v10 offset:13056
	v_add_nc_u32_e32 v23, 0x1000, v88
	s_waitcnt lgkmcnt(0)
	v_add_f64 v[8:9], v[0:1], -v[15:16]
	v_add_f64 v[21:22], v[2:3], v[17:18]
	v_add_f64 v[2:3], v[2:3], -v[17:18]
	v_add_f64 v[0:1], v[0:1], v[15:16]
	s_delay_alu instid0(VALU_DEP_4) | instskip(NEXT) | instid1(VALU_DEP_4)
	v_mul_f64 v[8:9], v[8:9], 0.5
	v_mul_f64 v[17:18], v[21:22], 0.5
	s_delay_alu instid0(VALU_DEP_4) | instskip(SKIP_1) | instid1(VALU_DEP_3)
	v_mul_f64 v[2:3], v[2:3], 0.5
	s_waitcnt vmcnt(1)
	v_mul_f64 v[15:16], v[8:9], v[13:14]
	s_delay_alu instid0(VALU_DEP_2) | instskip(SKIP_1) | instid1(VALU_DEP_3)
	v_fma_f64 v[21:22], v[17:18], v[13:14], v[2:3]
	v_fma_f64 v[2:3], v[17:18], v[13:14], -v[2:3]
	v_fma_f64 v[13:14], v[0:1], 0.5, v[15:16]
	v_fma_f64 v[0:1], v[0:1], 0.5, -v[15:16]
	s_delay_alu instid0(VALU_DEP_4) | instskip(NEXT) | instid1(VALU_DEP_4)
	v_fma_f64 v[15:16], -v[11:12], v[8:9], v[21:22]
	v_fma_f64 v[2:3], -v[11:12], v[8:9], v[2:3]
	s_delay_alu instid0(VALU_DEP_4) | instskip(NEXT) | instid1(VALU_DEP_4)
	v_fma_f64 v[8:9], v[17:18], v[11:12], v[13:14]
	v_fma_f64 v[0:1], -v[17:18], v[11:12], v[0:1]
	global_load_b128 v[11:14], v[19:20], off offset:2432
	ds_store_2addr_b64 v23, v[8:9], v[15:16] offset0:32 offset1:33
	ds_store_b128 v10, v[0:3] offset:13056
	ds_load_b128 v[0:3], v88 offset:5440
	ds_load_b128 v[15:18], v10 offset:11968
	s_waitcnt lgkmcnt(0)
	v_add_f64 v[8:9], v[0:1], -v[15:16]
	v_add_f64 v[21:22], v[2:3], v[17:18]
	v_add_f64 v[2:3], v[2:3], -v[17:18]
	v_add_f64 v[0:1], v[0:1], v[15:16]
	s_delay_alu instid0(VALU_DEP_4) | instskip(NEXT) | instid1(VALU_DEP_4)
	v_mul_f64 v[8:9], v[8:9], 0.5
	v_mul_f64 v[17:18], v[21:22], 0.5
	s_delay_alu instid0(VALU_DEP_4) | instskip(SKIP_1) | instid1(VALU_DEP_3)
	v_mul_f64 v[2:3], v[2:3], 0.5
	s_waitcnt vmcnt(1)
	v_mul_f64 v[15:16], v[8:9], v[6:7]
	s_delay_alu instid0(VALU_DEP_2) | instskip(SKIP_1) | instid1(VALU_DEP_3)
	v_fma_f64 v[21:22], v[17:18], v[6:7], v[2:3]
	v_fma_f64 v[2:3], v[17:18], v[6:7], -v[2:3]
	v_fma_f64 v[6:7], v[0:1], 0.5, v[15:16]
	v_fma_f64 v[0:1], v[0:1], 0.5, -v[15:16]
	s_delay_alu instid0(VALU_DEP_4) | instskip(NEXT) | instid1(VALU_DEP_4)
	v_fma_f64 v[15:16], -v[4:5], v[8:9], v[21:22]
	v_fma_f64 v[2:3], -v[4:5], v[8:9], v[2:3]
	s_delay_alu instid0(VALU_DEP_4) | instskip(NEXT) | instid1(VALU_DEP_4)
	v_fma_f64 v[8:9], v[17:18], v[4:5], v[6:7]
	v_fma_f64 v[0:1], -v[17:18], v[4:5], v[0:1]
	global_load_b128 v[4:7], v[19:20], off offset:3520
	ds_store_2addr_b64 v23, v[8:9], v[15:16] offset0:168 offset1:169
	ds_store_b128 v10, v[0:3] offset:11968
	ds_load_b128 v[0:3], v88 offset:6528
	ds_load_b128 v[15:18], v10 offset:10880
	s_waitcnt lgkmcnt(0)
	v_add_f64 v[8:9], v[0:1], -v[15:16]
	v_add_f64 v[19:20], v[2:3], v[17:18]
	v_add_f64 v[2:3], v[2:3], -v[17:18]
	v_add_f64 v[0:1], v[0:1], v[15:16]
	s_delay_alu instid0(VALU_DEP_4) | instskip(NEXT) | instid1(VALU_DEP_4)
	v_mul_f64 v[8:9], v[8:9], 0.5
	v_mul_f64 v[17:18], v[19:20], 0.5
	s_delay_alu instid0(VALU_DEP_4) | instskip(SKIP_1) | instid1(VALU_DEP_3)
	v_mul_f64 v[2:3], v[2:3], 0.5
	s_waitcnt vmcnt(1)
	v_mul_f64 v[15:16], v[8:9], v[13:14]
	s_delay_alu instid0(VALU_DEP_2) | instskip(SKIP_1) | instid1(VALU_DEP_3)
	v_fma_f64 v[19:20], v[17:18], v[13:14], v[2:3]
	v_fma_f64 v[2:3], v[17:18], v[13:14], -v[2:3]
	v_fma_f64 v[13:14], v[0:1], 0.5, v[15:16]
	v_fma_f64 v[0:1], v[0:1], 0.5, -v[15:16]
	s_delay_alu instid0(VALU_DEP_4) | instskip(NEXT) | instid1(VALU_DEP_4)
	v_fma_f64 v[15:16], -v[11:12], v[8:9], v[19:20]
	v_fma_f64 v[2:3], -v[11:12], v[8:9], v[2:3]
	s_delay_alu instid0(VALU_DEP_4) | instskip(NEXT) | instid1(VALU_DEP_4)
	v_fma_f64 v[8:9], v[17:18], v[11:12], v[13:14]
	v_fma_f64 v[0:1], -v[17:18], v[11:12], v[0:1]
	v_add_nc_u32_e32 v17, 0x1800, v88
	ds_store_2addr_b64 v17, v[8:9], v[15:16] offset0:48 offset1:49
	ds_store_b128 v10, v[0:3] offset:10880
	ds_load_b128 v[0:3], v88 offset:7616
	ds_load_b128 v[11:14], v10 offset:9792
	s_waitcnt lgkmcnt(0)
	v_add_f64 v[8:9], v[0:1], -v[11:12]
	v_add_f64 v[15:16], v[2:3], v[13:14]
	v_add_f64 v[2:3], v[2:3], -v[13:14]
	v_add_f64 v[0:1], v[0:1], v[11:12]
	s_delay_alu instid0(VALU_DEP_4) | instskip(NEXT) | instid1(VALU_DEP_4)
	v_mul_f64 v[8:9], v[8:9], 0.5
	v_mul_f64 v[13:14], v[15:16], 0.5
	s_delay_alu instid0(VALU_DEP_4) | instskip(SKIP_1) | instid1(VALU_DEP_3)
	v_mul_f64 v[2:3], v[2:3], 0.5
	s_waitcnt vmcnt(0)
	v_mul_f64 v[11:12], v[8:9], v[6:7]
	s_delay_alu instid0(VALU_DEP_2) | instskip(SKIP_1) | instid1(VALU_DEP_3)
	v_fma_f64 v[15:16], v[13:14], v[6:7], v[2:3]
	v_fma_f64 v[2:3], v[13:14], v[6:7], -v[2:3]
	v_fma_f64 v[6:7], v[0:1], 0.5, v[11:12]
	v_fma_f64 v[0:1], v[0:1], 0.5, -v[11:12]
	s_delay_alu instid0(VALU_DEP_4) | instskip(NEXT) | instid1(VALU_DEP_4)
	v_fma_f64 v[11:12], -v[4:5], v[8:9], v[15:16]
	v_fma_f64 v[2:3], -v[4:5], v[8:9], v[2:3]
	s_delay_alu instid0(VALU_DEP_4) | instskip(NEXT) | instid1(VALU_DEP_4)
	v_fma_f64 v[6:7], v[13:14], v[4:5], v[6:7]
	v_fma_f64 v[0:1], -v[13:14], v[4:5], v[0:1]
	ds_store_2addr_b64 v17, v[6:7], v[11:12] offset0:184 offset1:185
	ds_store_b128 v10, v[0:3] offset:9792
	s_waitcnt lgkmcnt(0)
	s_barrier
	buffer_gl0_inv
	s_and_saveexec_b32 s0, vcc_lo
	s_cbranch_execz .LBB0_21
; %bb.19:
	v_mul_lo_u32 v3, s3, v72
	v_mul_lo_u32 v4, s2, v73
	v_mad_u64_u32 v[1:2], null, s2, v72, 0
	v_dual_mov_b32 v150, 0 :: v_dual_add_nc_u32 v13, 0x44, v149
	v_lshlrev_b64 v[11:12], 4, v[68:69]
	v_lshl_add_u32 v0, v149, 4, v255
	s_delay_alu instid0(VALU_DEP_3)
	v_dual_mov_b32 v14, v150 :: v_dual_add_nc_u32 v15, 0x88, v149
	v_add3_u32 v2, v2, v4, v3
	v_lshlrev_b64 v[17:18], 4, v[149:150]
	v_dual_mov_b32 v16, v150 :: v_dual_add_nc_u32 v25, 0xcc, v149
	ds_load_b128 v[3:6], v0
	ds_load_b128 v[7:10], v0 offset:1088
	v_lshlrev_b64 v[1:2], 4, v[1:2]
	v_lshlrev_b64 v[19:20], 4, v[13:14]
	;; [unrolled: 1-line block ×3, first 2 shown]
	v_dual_mov_b32 v26, v150 :: v_dual_add_nc_u32 v27, 0x110, v149
	v_mov_b32_e32 v28, v150
	v_add_co_u32 v1, vcc_lo, s6, v1
	v_add_co_ci_u32_e32 v2, vcc_lo, s7, v2, vcc_lo
	s_delay_alu instid0(VALU_DEP_4) | instskip(NEXT) | instid1(VALU_DEP_3)
	v_lshlrev_b64 v[25:26], 4, v[25:26]
	v_add_co_u32 v1, vcc_lo, v1, v11
	s_delay_alu instid0(VALU_DEP_3) | instskip(NEXT) | instid1(VALU_DEP_2)
	v_add_co_ci_u32_e32 v2, vcc_lo, v2, v12, vcc_lo
	v_add_co_u32 v23, vcc_lo, v1, v17
	s_delay_alu instid0(VALU_DEP_2)
	v_add_co_ci_u32_e32 v24, vcc_lo, v2, v18, vcc_lo
	ds_load_b128 v[11:14], v0 offset:2176
	ds_load_b128 v[15:18], v0 offset:3264
	v_add_co_u32 v19, vcc_lo, v1, v19
	v_add_co_ci_u32_e32 v20, vcc_lo, v2, v20, vcc_lo
	v_add_co_u32 v21, vcc_lo, v1, v21
	v_add_co_ci_u32_e32 v22, vcc_lo, v2, v22, vcc_lo
	;; [unrolled: 2-line block ×3, first 2 shown]
	s_waitcnt lgkmcnt(3)
	global_store_b128 v[23:24], v[3:6], off
	s_waitcnt lgkmcnt(2)
	global_store_b128 v[19:20], v[7:10], off
	;; [unrolled: 2-line block ×4, first 2 shown]
	v_add_nc_u32_e32 v11, 0x154, v149
	v_lshlrev_b64 v[3:4], 4, v[27:28]
	v_dual_mov_b32 v12, v150 :: v_dual_add_nc_u32 v13, 0x198, v149
	v_dual_mov_b32 v14, v150 :: v_dual_add_nc_u32 v25, 0x1dc, v149
	;; [unrolled: 1-line block ×3, first 2 shown]
	s_delay_alu instid0(VALU_DEP_4)
	v_add_co_u32 v19, vcc_lo, v1, v3
	v_add_co_ci_u32_e32 v20, vcc_lo, v2, v4, vcc_lo
	ds_load_b128 v[3:6], v0 offset:4352
	ds_load_b128 v[7:10], v0 offset:5440
	v_lshlrev_b64 v[21:22], 4, v[11:12]
	v_lshlrev_b64 v[23:24], 4, v[13:14]
	ds_load_b128 v[11:14], v0 offset:6528
	ds_load_b128 v[15:18], v0 offset:7616
	v_lshlrev_b64 v[25:26], 4, v[25:26]
	v_add_co_u32 v21, vcc_lo, v1, v21
	v_add_co_ci_u32_e32 v22, vcc_lo, v2, v22, vcc_lo
	v_add_co_u32 v23, vcc_lo, v1, v23
	v_add_co_ci_u32_e32 v24, vcc_lo, v2, v24, vcc_lo
	;; [unrolled: 2-line block ×3, first 2 shown]
	s_waitcnt lgkmcnt(3)
	global_store_b128 v[19:20], v[3:6], off
	s_waitcnt lgkmcnt(2)
	global_store_b128 v[21:22], v[7:10], off
	s_waitcnt lgkmcnt(1)
	global_store_b128 v[23:24], v[11:14], off
	s_waitcnt lgkmcnt(0)
	global_store_b128 v[25:26], v[15:18], off
	v_lshlrev_b64 v[3:4], 4, v[27:28]
	v_dual_mov_b32 v12, v150 :: v_dual_add_nc_u32 v11, 0x264, v149
	v_dual_mov_b32 v14, v150 :: v_dual_add_nc_u32 v13, 0x2a8, v149
	;; [unrolled: 1-line block ×3, first 2 shown]
	s_delay_alu instid0(VALU_DEP_4)
	v_add_co_u32 v19, vcc_lo, v1, v3
	v_add_co_ci_u32_e32 v20, vcc_lo, v2, v4, vcc_lo
	ds_load_b128 v[3:6], v0 offset:8704
	ds_load_b128 v[7:10], v0 offset:9792
	v_lshlrev_b64 v[21:22], 4, v[11:12]
	v_lshlrev_b64 v[23:24], 4, v[13:14]
	ds_load_b128 v[11:14], v0 offset:10880
	ds_load_b128 v[15:18], v0 offset:11968
	v_lshlrev_b64 v[25:26], 4, v[25:26]
	v_add_nc_u32_e32 v27, 0x330, v149
	v_add_co_u32 v21, vcc_lo, v1, v21
	v_add_co_ci_u32_e32 v22, vcc_lo, v2, v22, vcc_lo
	v_add_co_u32 v23, vcc_lo, v1, v23
	v_add_co_ci_u32_e32 v24, vcc_lo, v2, v24, vcc_lo
	;; [unrolled: 2-line block ×3, first 2 shown]
	s_waitcnt lgkmcnt(3)
	global_store_b128 v[19:20], v[3:6], off
	s_waitcnt lgkmcnt(2)
	global_store_b128 v[21:22], v[7:10], off
	;; [unrolled: 2-line block ×4, first 2 shown]
	v_mov_b32_e32 v12, v150
	v_lshlrev_b64 v[3:4], 4, v[27:28]
	v_dual_mov_b32 v14, v150 :: v_dual_add_nc_u32 v11, 0x374, v149
	v_dual_mov_b32 v26, v150 :: v_dual_add_nc_u32 v13, 0x3b8, v149
	v_add_nc_u32_e32 v25, 0x3fc, v149
	s_delay_alu instid0(VALU_DEP_4)
	v_add_co_u32 v19, vcc_lo, v1, v3
	v_add_co_ci_u32_e32 v20, vcc_lo, v2, v4, vcc_lo
	ds_load_b128 v[3:6], v0 offset:13056
	ds_load_b128 v[7:10], v0 offset:14144
	v_lshlrev_b64 v[21:22], 4, v[11:12]
	v_lshlrev_b64 v[23:24], 4, v[13:14]
	ds_load_b128 v[11:14], v0 offset:15232
	ds_load_b128 v[15:18], v0 offset:16320
	v_lshlrev_b64 v[25:26], 4, v[25:26]
	v_add_co_u32 v21, vcc_lo, v1, v21
	v_add_co_ci_u32_e32 v22, vcc_lo, v2, v22, vcc_lo
	v_add_co_u32 v23, vcc_lo, v1, v23
	v_add_co_ci_u32_e32 v24, vcc_lo, v2, v24, vcc_lo
	;; [unrolled: 2-line block ×3, first 2 shown]
	v_cmp_eq_u32_e32 vcc_lo, 0x43, v149
	s_waitcnt lgkmcnt(3)
	global_store_b128 v[19:20], v[3:6], off
	s_waitcnt lgkmcnt(2)
	global_store_b128 v[21:22], v[7:10], off
	;; [unrolled: 2-line block ×4, first 2 shown]
	s_and_b32 exec_lo, exec_lo, vcc_lo
	s_cbranch_execz .LBB0_21
; %bb.20:
	ds_load_b128 v[3:6], v0 offset:16336
	v_add_co_u32 v0, vcc_lo, 0x4000, v1
	v_add_co_ci_u32_e32 v1, vcc_lo, 0, v2, vcc_lo
	s_waitcnt lgkmcnt(0)
	global_store_b128 v[0:1], v[3:6], off offset:1024
.LBB0_21:
	s_nop 0
	s_sendmsg sendmsg(MSG_DEALLOC_VGPRS)
	s_endpgm
	.section	.rodata,"a",@progbits
	.p2align	6, 0x0
	.amdhsa_kernel fft_rtc_fwd_len1088_factors_17_4_4_2_2_wgs_204_tpt_68_halfLds_dp_op_CI_CI_unitstride_sbrr_R2C_dirReg
		.amdhsa_group_segment_fixed_size 0
		.amdhsa_private_segment_fixed_size 100
		.amdhsa_kernarg_size 104
		.amdhsa_user_sgpr_count 15
		.amdhsa_user_sgpr_dispatch_ptr 0
		.amdhsa_user_sgpr_queue_ptr 0
		.amdhsa_user_sgpr_kernarg_segment_ptr 1
		.amdhsa_user_sgpr_dispatch_id 0
		.amdhsa_user_sgpr_private_segment_size 0
		.amdhsa_wavefront_size32 1
		.amdhsa_uses_dynamic_stack 0
		.amdhsa_enable_private_segment 1
		.amdhsa_system_sgpr_workgroup_id_x 1
		.amdhsa_system_sgpr_workgroup_id_y 0
		.amdhsa_system_sgpr_workgroup_id_z 0
		.amdhsa_system_sgpr_workgroup_info 0
		.amdhsa_system_vgpr_workitem_id 0
		.amdhsa_next_free_vgpr 256
		.amdhsa_next_free_sgpr 56
		.amdhsa_reserve_vcc 1
		.amdhsa_float_round_mode_32 0
		.amdhsa_float_round_mode_16_64 0
		.amdhsa_float_denorm_mode_32 3
		.amdhsa_float_denorm_mode_16_64 3
		.amdhsa_dx10_clamp 1
		.amdhsa_ieee_mode 1
		.amdhsa_fp16_overflow 0
		.amdhsa_workgroup_processor_mode 1
		.amdhsa_memory_ordered 1
		.amdhsa_forward_progress 0
		.amdhsa_shared_vgpr_count 0
		.amdhsa_exception_fp_ieee_invalid_op 0
		.amdhsa_exception_fp_denorm_src 0
		.amdhsa_exception_fp_ieee_div_zero 0
		.amdhsa_exception_fp_ieee_overflow 0
		.amdhsa_exception_fp_ieee_underflow 0
		.amdhsa_exception_fp_ieee_inexact 0
		.amdhsa_exception_int_div_zero 0
	.end_amdhsa_kernel
	.text
.Lfunc_end0:
	.size	fft_rtc_fwd_len1088_factors_17_4_4_2_2_wgs_204_tpt_68_halfLds_dp_op_CI_CI_unitstride_sbrr_R2C_dirReg, .Lfunc_end0-fft_rtc_fwd_len1088_factors_17_4_4_2_2_wgs_204_tpt_68_halfLds_dp_op_CI_CI_unitstride_sbrr_R2C_dirReg
                                        ; -- End function
	.section	.AMDGPU.csdata,"",@progbits
; Kernel info:
; codeLenInByte = 16908
; NumSgprs: 58
; NumVgprs: 256
; ScratchSize: 100
; MemoryBound: 0
; FloatMode: 240
; IeeeMode: 1
; LDSByteSize: 0 bytes/workgroup (compile time only)
; SGPRBlocks: 7
; VGPRBlocks: 31
; NumSGPRsForWavesPerEU: 58
; NumVGPRsForWavesPerEU: 256
; Occupancy: 5
; WaveLimiterHint : 1
; COMPUTE_PGM_RSRC2:SCRATCH_EN: 1
; COMPUTE_PGM_RSRC2:USER_SGPR: 15
; COMPUTE_PGM_RSRC2:TRAP_HANDLER: 0
; COMPUTE_PGM_RSRC2:TGID_X_EN: 1
; COMPUTE_PGM_RSRC2:TGID_Y_EN: 0
; COMPUTE_PGM_RSRC2:TGID_Z_EN: 0
; COMPUTE_PGM_RSRC2:TIDIG_COMP_CNT: 0
	.text
	.p2alignl 7, 3214868480
	.fill 96, 4, 3214868480
	.type	__hip_cuid_6c05d29e99b6dbaa,@object ; @__hip_cuid_6c05d29e99b6dbaa
	.section	.bss,"aw",@nobits
	.globl	__hip_cuid_6c05d29e99b6dbaa
__hip_cuid_6c05d29e99b6dbaa:
	.byte	0                               ; 0x0
	.size	__hip_cuid_6c05d29e99b6dbaa, 1

	.ident	"AMD clang version 19.0.0git (https://github.com/RadeonOpenCompute/llvm-project roc-6.4.0 25133 c7fe45cf4b819c5991fe208aaa96edf142730f1d)"
	.section	".note.GNU-stack","",@progbits
	.addrsig
	.addrsig_sym __hip_cuid_6c05d29e99b6dbaa
	.amdgpu_metadata
---
amdhsa.kernels:
  - .args:
      - .actual_access:  read_only
        .address_space:  global
        .offset:         0
        .size:           8
        .value_kind:     global_buffer
      - .offset:         8
        .size:           8
        .value_kind:     by_value
      - .actual_access:  read_only
        .address_space:  global
        .offset:         16
        .size:           8
        .value_kind:     global_buffer
      - .actual_access:  read_only
        .address_space:  global
        .offset:         24
        .size:           8
        .value_kind:     global_buffer
      - .actual_access:  read_only
        .address_space:  global
        .offset:         32
        .size:           8
        .value_kind:     global_buffer
      - .offset:         40
        .size:           8
        .value_kind:     by_value
      - .actual_access:  read_only
        .address_space:  global
        .offset:         48
        .size:           8
        .value_kind:     global_buffer
      - .actual_access:  read_only
        .address_space:  global
        .offset:         56
        .size:           8
        .value_kind:     global_buffer
      - .offset:         64
        .size:           4
        .value_kind:     by_value
      - .actual_access:  read_only
        .address_space:  global
        .offset:         72
        .size:           8
        .value_kind:     global_buffer
      - .actual_access:  read_only
        .address_space:  global
        .offset:         80
        .size:           8
        .value_kind:     global_buffer
      - .actual_access:  read_only
        .address_space:  global
        .offset:         88
        .size:           8
        .value_kind:     global_buffer
      - .actual_access:  write_only
        .address_space:  global
        .offset:         96
        .size:           8
        .value_kind:     global_buffer
    .group_segment_fixed_size: 0
    .kernarg_segment_align: 8
    .kernarg_segment_size: 104
    .language:       OpenCL C
    .language_version:
      - 2
      - 0
    .max_flat_workgroup_size: 204
    .name:           fft_rtc_fwd_len1088_factors_17_4_4_2_2_wgs_204_tpt_68_halfLds_dp_op_CI_CI_unitstride_sbrr_R2C_dirReg
    .private_segment_fixed_size: 100
    .sgpr_count:     58
    .sgpr_spill_count: 0
    .symbol:         fft_rtc_fwd_len1088_factors_17_4_4_2_2_wgs_204_tpt_68_halfLds_dp_op_CI_CI_unitstride_sbrr_R2C_dirReg.kd
    .uniform_work_group_size: 1
    .uses_dynamic_stack: false
    .vgpr_count:     256
    .vgpr_spill_count: 24
    .wavefront_size: 32
    .workgroup_processor_mode: 1
amdhsa.target:   amdgcn-amd-amdhsa--gfx1100
amdhsa.version:
  - 1
  - 2
...

	.end_amdgpu_metadata
